;; amdgpu-corpus repo=zjin-lcf/HeCBench kind=compiled arch=gfx1250 opt=O3
	.amdgcn_target "amdgcn-amd-amdhsa--gfx1250"
	.amdhsa_code_object_version 6
	.text
	.protected	_Z11AIDW_KernelPKfS0_S0_iS0_S0_PfifS0_ ; -- Begin function _Z11AIDW_KernelPKfS0_S0_iS0_S0_PfifS0_
	.globl	_Z11AIDW_KernelPKfS0_S0_iS0_S0_PfifS0_
	.p2align	8
	.type	_Z11AIDW_KernelPKfS0_S0_iS0_S0_PfifS0_,@function
_Z11AIDW_KernelPKfS0_S0_iS0_S0_PfifS0_: ; @_Z11AIDW_KernelPKfS0_S0_iS0_S0_PfifS0_
; %bb.0:
	s_clause 0x1
	s_load_b32 s4, s[0:1], 0x54
	s_load_b64 s[2:3], s[0:1], 0x38
	s_bfe_u32 s5, ttmp6, 0x4000c
	s_and_b32 s6, ttmp6, 15
	s_add_co_i32 s5, s5, 1
	s_getreg_b32 s7, hwreg(HW_REG_IB_STS2, 6, 4)
	s_mul_i32 s5, ttmp9, s5
	s_delay_alu instid0(SALU_CYCLE_1) | instskip(SKIP_4) | instid1(SALU_CYCLE_1)
	s_add_co_i32 s6, s6, s5
	s_wait_kmcnt 0x0
	s_and_b32 s4, s4, 0xffff
	s_cmp_eq_u32 s7, 0
	s_cselect_b32 s5, ttmp9, s6
	v_mad_u32 v0, s5, s4, v0
	s_delay_alu instid0(VALU_DEP_1)
	v_cmp_gt_i32_e32 vcc_lo, s2, v0
	s_and_saveexec_b32 s2, vcc_lo
	s_cbranch_execz .LBB0_13
; %bb.1:
	s_clause 0x1
	s_load_b64 s[4:5], s[0:1], 0x40
	s_load_b96 s[12:14], s[0:1], 0x10
	s_mov_b32 s8, exec_lo
	s_wait_kmcnt 0x0
	global_load_b32 v1, v0, s[4:5] scale_offset
	s_cvt_f32_i32 s2, s14
	s_delay_alu instid0(SALU_CYCLE_3) | instskip(SKIP_1) | instid1(VALU_DEP_2)
	v_div_scale_f32 v2, null, s3, s3, s2
	v_div_scale_f32 v5, vcc_lo, s2, s3, s2
	v_rcp_f32_e32 v3, v2
	v_nop
	v_xor_b32_e32 v2, 0x80000000, v2
	s_delay_alu instid0(TRANS32_DEP_1) | instid1(VALU_DEP_1)
	v_fma_f32 v4, v2, v3, 1.0
	s_delay_alu instid0(VALU_DEP_1) | instskip(NEXT) | instid1(VALU_DEP_1)
	v_fmac_f32_e32 v3, v4, v3
	v_mul_f32_e32 v4, v5, v3
	s_delay_alu instid0(VALU_DEP_1) | instskip(NEXT) | instid1(VALU_DEP_1)
	v_fma_f32 v6, v2, v4, v5
	v_fmac_f32_e32 v4, v6, v3
	s_delay_alu instid0(VALU_DEP_1) | instskip(NEXT) | instid1(VALU_DEP_1)
	v_fmac_f32_e32 v5, v2, v4
	v_div_fmas_f32 v2, v5, v3, v4
	s_delay_alu instid0(VALU_DEP_1) | instskip(NEXT) | instid1(VALU_DEP_1)
	v_div_fixup_f32 v2, v2, s3, s2
	v_readfirstlane_b32 s2, v2
	v_cmp_gt_f32_e32 vcc_lo, 0xf800000, v2
	s_mul_f32 s3, s2, 0x4f800000
	s_cmp_lt_f32 s2, 0xf800000
	s_delay_alu instid0(SALU_CYCLE_2) | instskip(NEXT) | instid1(SALU_CYCLE_1)
	s_cselect_b32 s2, s3, s2
	v_s_sqrt_f32 s3, s2
	s_wait_xcnt 0x0
	s_mov_b32 s5, s2
	s_delay_alu instid0(TRANS32_DEP_1) | instskip(NEXT) | instid1(SALU_CYCLE_1)
	s_add_co_i32 s4, s3, -1
	s_xor_b32 s6, s4, 0x80000000
	s_delay_alu instid0(SALU_CYCLE_1) | instskip(SKIP_1) | instid1(SALU_CYCLE_2)
	s_fmac_f32 s5, s6, s3
	s_mov_b32 s6, s2
	s_cmp_le_f32 s5, 0
	s_cselect_b32 s4, s4, s3
	s_add_co_i32 s5, s3, 1
	s_delay_alu instid0(SALU_CYCLE_1) | instskip(NEXT) | instid1(SALU_CYCLE_1)
	s_xor_b32 s7, s5, 0x80000000
	s_fmac_f32 s6, s7, s3
	s_delay_alu instid0(SALU_CYCLE_3) | instskip(SKIP_1) | instid1(SALU_CYCLE_1)
	s_cmp_gt_f32 s6, 0
	s_cselect_b32 s3, s5, s4
	s_mul_f32 s4, s3, 0x37800000
	s_delay_alu instid0(SALU_CYCLE_3) | instskip(SKIP_1) | instid1(VALU_DEP_1)
	v_mov_b32_e32 v3, s4
	s_load_b128 s[4:7], s[0:1], 0x0
	v_cndmask_b32_e32 v2, s3, v3, vcc_lo
	v_cmp_class_f32_e64 s3, s2, 0x260
	s_delay_alu instid0(VALU_DEP_1) | instskip(NEXT) | instid1(VALU_DEP_1)
	v_cndmask_b32_e64 v2, v2, s2, s3
	v_div_scale_f32 v3, null, v2, v2, 0.5
	v_div_scale_f32 v6, vcc_lo, 0.5, v2, 0.5
	s_delay_alu instid0(VALU_DEP_2)
	v_rcp_f32_e32 v4, v3
	v_nop
	v_xor_b32_e32 v3, 0x80000000, v3
	s_delay_alu instid0(TRANS32_DEP_1) | instid1(VALU_DEP_1)
	v_fma_f32 v5, v3, v4, 1.0
	s_delay_alu instid0(VALU_DEP_1) | instskip(NEXT) | instid1(VALU_DEP_1)
	v_fmac_f32_e32 v4, v5, v4
	v_mul_f32_e32 v5, v6, v4
	s_delay_alu instid0(VALU_DEP_1) | instskip(NEXT) | instid1(VALU_DEP_1)
	v_fma_f32 v7, v3, v5, v6
	v_fmac_f32_e32 v5, v7, v4
	s_delay_alu instid0(VALU_DEP_1) | instskip(NEXT) | instid1(VALU_DEP_1)
	v_fmac_f32_e32 v6, v3, v5
	v_div_fmas_f32 v3, v6, v4, v5
	s_delay_alu instid0(VALU_DEP_1) | instskip(SKIP_1) | instid1(VALU_DEP_1)
	v_div_fixup_f32 v2, v3, v2, 0.5
	s_wait_loadcnt 0x0
	v_div_scale_f32 v3, null, v2, v2, v1
	v_div_scale_f32 v6, vcc_lo, v1, v2, v1
	s_delay_alu instid0(VALU_DEP_2) | instskip(SKIP_1) | instid1(TRANS32_DEP_1)
	v_rcp_f32_e32 v4, v3
	v_nop
	v_fma_f32 v5, -v3, v4, 1.0
	s_delay_alu instid0(VALU_DEP_1) | instskip(NEXT) | instid1(VALU_DEP_1)
	v_fmac_f32_e32 v4, v5, v4
	v_mul_f32_e32 v5, v6, v4
	s_delay_alu instid0(VALU_DEP_1) | instskip(NEXT) | instid1(VALU_DEP_1)
	v_fma_f32 v7, -v3, v5, v6
	v_fmac_f32_e32 v5, v7, v4
	s_delay_alu instid0(VALU_DEP_1) | instskip(NEXT) | instid1(VALU_DEP_1)
	v_fma_f32 v3, -v3, v5, v6
	v_div_fmas_f32 v3, v3, v4, v5
	v_mov_b32_e32 v5, 0
	s_delay_alu instid0(VALU_DEP_2) | instskip(SKIP_1) | instid1(VALU_DEP_2)
	v_div_fixup_f32 v4, v3, v2, v1
	v_ashrrev_i32_e32 v1, 31, v0
	v_cmpx_le_f32_e32 0, v4
	s_cbranch_execz .LBB0_7
; %bb.2:
	v_mul_f32_e32 v2, 0x3fc90fda, v4
                                        ; implicit-def: $vgpr5
                                        ; implicit-def: $vgpr3
	s_mov_b32 s3, exec_lo
	s_delay_alu instid0(VALU_DEP_1)
	v_cmpx_ngt_f32_e64 0x48000000, |v2|
	s_xor_b32 s9, exec_lo, s3
	s_cbranch_execz .LBB0_4
; %bb.3:
	v_and_b32_e32 v3, 0x7fffffff, v2
	s_mov_b32 s2, 0x7fffff
	v_mov_b32_e32 v7, 0
	s_delay_alu instid0(VALU_DEP_2) | instskip(SKIP_2) | instid1(VALU_DEP_2)
	v_and_or_b32 v6, v3, s2, 0x800000
	s_mov_b64 s[2:3], 0xfe5163ab
	v_lshrrev_b32_e32 v3, 23, v3
	v_mul_u64_e32 v[8:9], s[2:3], v[6:7]
	s_delay_alu instid0(VALU_DEP_1) | instskip(SKIP_2) | instid1(VALU_DEP_3)
	v_dual_mov_b32 v10, v9 :: v_dual_mov_b32 v11, v7
	v_dual_mov_b32 v13, v7 :: v_dual_mov_b32 v15, v7
	;; [unrolled: 1-line block ×3, first 2 shown]
	v_mad_nc_u64_u32 v[10:11], 0x3c439041, v6, v[10:11]
	s_delay_alu instid0(VALU_DEP_1) | instskip(NEXT) | instid1(VALU_DEP_1)
	v_mov_b32_e32 v12, v11
	v_mad_nc_u64_u32 v[12:13], 0xdb629599, v6, v[12:13]
	s_delay_alu instid0(VALU_DEP_1) | instskip(NEXT) | instid1(VALU_DEP_1)
	v_mov_b32_e32 v14, v13
	;; [unrolled: 3-line block ×3, first 2 shown]
	v_mad_nc_u64_u32 v[16:17], 0xfc2757d1, v6, v[16:17]
	s_delay_alu instid0(VALU_DEP_1) | instskip(NEXT) | instid1(VALU_DEP_1)
	v_dual_mov_b32 v19, v7 :: v_dual_mov_b32 v18, v17
	v_mad_nc_u64_u32 v[18:19], 0x4e441529, v6, v[18:19]
	s_delay_alu instid0(VALU_DEP_1) | instskip(NEXT) | instid1(VALU_DEP_1)
	v_dual_mov_b32 v20, v19 :: v_dual_add_nc_u32 v3, 0xffffff88, v3
	v_cmp_lt_u32_e32 vcc_lo, 63, v3
	s_delay_alu instid0(VALU_DEP_2) | instskip(SKIP_2) | instid1(VALU_DEP_2)
	v_mad_nc_u64_u32 v[6:7], 0xa2f9836e, v6, v[20:21]
	v_cndmask_b32_e64 v5, 0, 0xffffffc0, vcc_lo
	v_dual_cndmask_b32 v9, v18, v14 :: v_dual_cndmask_b32 v8, v12, v8
	v_add_nc_u32_e32 v3, v5, v3
	s_delay_alu instid0(VALU_DEP_1) | instskip(SKIP_1) | instid1(VALU_DEP_2)
	v_cmp_lt_u32_e64 s2, 31, v3
	v_dual_cndmask_b32 v6, v6, v16 :: v_dual_cndmask_b32 v7, v7, v18
	v_cndmask_b32_e64 v5, 0, 0xffffffe0, s2
	s_delay_alu instid0(VALU_DEP_1) | instskip(NEXT) | instid1(VALU_DEP_1)
	v_add_nc_u32_e32 v3, v5, v3
	v_cmp_lt_u32_e64 s3, 31, v3
	s_delay_alu instid0(VALU_DEP_1) | instskip(NEXT) | instid1(VALU_DEP_1)
	v_cndmask_b32_e64 v5, 0, 0xffffffe0, s3
	v_dual_cndmask_b32 v11, v16, v12, vcc_lo :: v_dual_add_nc_u32 v3, v5, v3
	v_cndmask_b32_e32 v5, v14, v10, vcc_lo
	v_dual_cndmask_b32 v10, v6, v9, s2 :: v_dual_cndmask_b32 v6, v7, v6, s2
	s_delay_alu instid0(VALU_DEP_3) | instskip(NEXT) | instid1(VALU_DEP_3)
	v_cndmask_b32_e64 v7, v9, v11, s2
	v_dual_sub_nc_u32 v9, 32, v3 :: v_dual_cndmask_b32 v11, v11, v5, s2
	v_cmp_eq_u32_e32 vcc_lo, 0, v3
	s_delay_alu instid0(VALU_DEP_4) | instskip(NEXT) | instid1(VALU_DEP_4)
	v_cndmask_b32_e64 v6, v6, v10, s3
	v_cndmask_b32_e64 v10, v10, v7, s3
	s_delay_alu instid0(VALU_DEP_4) | instskip(NEXT) | instid1(VALU_DEP_2)
	v_cndmask_b32_e64 v7, v7, v11, s3
	v_alignbit_b32 v13, v6, v10, v9
	s_delay_alu instid0(VALU_DEP_2) | instskip(SKIP_1) | instid1(VALU_DEP_3)
	v_alignbit_b32 v12, v10, v7, v9
	v_cndmask_b32_e64 v5, v5, v8, s2
	v_cndmask_b32_e32 v3, v13, v6, vcc_lo
	s_delay_alu instid0(VALU_DEP_2) | instskip(NEXT) | instid1(VALU_DEP_2)
	v_dual_cndmask_b32 v6, v12, v10, vcc_lo :: v_dual_cndmask_b32 v5, v11, v5, s3
	v_bfe_u32 v8, v3, 29, 1
	s_delay_alu instid0(VALU_DEP_2) | instskip(NEXT) | instid1(VALU_DEP_3)
	v_alignbit_b32 v10, v3, v6, 30
	v_alignbit_b32 v9, v7, v5, v9
	s_delay_alu instid0(VALU_DEP_1) | instskip(NEXT) | instid1(VALU_DEP_1)
	v_dual_sub_nc_u32 v11, 0, v8 :: v_dual_cndmask_b32 v7, v9, v7, vcc_lo
	v_xor_b32_e32 v10, v10, v11
	s_delay_alu instid0(VALU_DEP_2) | instskip(SKIP_1) | instid1(VALU_DEP_3)
	v_alignbit_b32 v6, v6, v7, 30
	v_alignbit_b32 v5, v7, v5, 30
	v_clz_i32_u32_e32 v9, v10
	s_delay_alu instid0(VALU_DEP_2) | instskip(NEXT) | instid1(VALU_DEP_2)
	v_xor_b32_e32 v5, v5, v11
	v_min_u32_e32 v9, 32, v9
	s_delay_alu instid0(VALU_DEP_1) | instskip(SKIP_1) | instid1(VALU_DEP_1)
	v_dual_lshlrev_b32 v12, 23, v9 :: v_dual_bitop2_b32 v6, v6, v11 bitop3:0x14
	v_sub_nc_u32_e32 v7, 31, v9
	v_alignbit_b32 v10, v10, v6, v7
	v_lshrrev_b32_e32 v11, 29, v3
	v_alignbit_b32 v5, v6, v5, v7
	s_delay_alu instid0(VALU_DEP_1) | instskip(NEXT) | instid1(VALU_DEP_3)
	v_alignbit_b32 v7, v10, v5, 9
	v_dual_lshrrev_b32 v10, 9, v10 :: v_dual_lshlrev_b32 v6, 31, v11
	s_delay_alu instid0(VALU_DEP_2) | instskip(NEXT) | instid1(VALU_DEP_2)
	v_clz_i32_u32_e32 v13, v7
	v_or_b32_e32 v11, 0.5, v6
	v_or_b32_e32 v6, 0x33000000, v6
	s_delay_alu instid0(VALU_DEP_2) | instskip(NEXT) | instid1(VALU_DEP_4)
	v_sub_nc_u32_e32 v11, v11, v12
	v_min_u32_e32 v12, 32, v13
	s_delay_alu instid0(VALU_DEP_2) | instskip(NEXT) | instid1(VALU_DEP_2)
	v_or_b32_e32 v10, v10, v11
	v_not_b32_e32 v11, v12
	v_add_lshl_u32 v9, v12, v9, 23
	s_delay_alu instid0(VALU_DEP_3) | instskip(NEXT) | instid1(VALU_DEP_3)
	v_mul_f32_e32 v13, 0x3fc90fda, v10
	v_alignbit_b32 v5, v7, v5, v11
	s_delay_alu instid0(VALU_DEP_3) | instskip(NEXT) | instid1(VALU_DEP_3)
	v_sub_nc_u32_e32 v6, v6, v9
	v_fma_f32 v7, 0x3fc90fda, v10, -v13
	s_delay_alu instid0(VALU_DEP_3) | instskip(NEXT) | instid1(VALU_DEP_2)
	v_lshrrev_b32_e32 v5, 9, v5
	v_fmamk_f32 v7, v10, 0x33a22168, v7
	s_delay_alu instid0(VALU_DEP_2) | instskip(NEXT) | instid1(VALU_DEP_1)
	v_or_b32_e32 v5, v6, v5
	v_fmac_f32_e32 v7, 0x3fc90fda, v5
	v_lshrrev_b32_e32 v5, 30, v3
	s_delay_alu instid0(VALU_DEP_1)
	v_dual_add_f32 v3, v13, v7 :: v_dual_add_nc_u32 v5, v8, v5
.LBB0_4:
	s_and_not1_saveexec_b32 s2, s9
; %bb.5:
	v_mul_f32_e64 v3, 0x3f22f983, |v2|
	s_delay_alu instid0(VALU_DEP_1) | instskip(NEXT) | instid1(VALU_DEP_1)
	v_rndne_f32_e32 v5, v3
	v_fma_f32 v3, 0xbfc90fda, v5, |v2|
	s_delay_alu instid0(VALU_DEP_1) | instskip(NEXT) | instid1(VALU_DEP_1)
	v_fmamk_f32 v3, v5, 0xb3a22168, v3
	v_fmamk_f32 v3, v5, 0xa7c234c4, v3
	v_cvt_i32_f32_e32 v5, v5
; %bb.6:
	s_or_b32 exec_lo, exec_lo, s2
	s_delay_alu instid0(VALU_DEP_1) | instskip(SKIP_3) | instid1(VALU_DEP_2)
	v_dual_mul_f32 v6, v3, v3 :: v_dual_bitop2_b32 v9, 1, v5 bitop3:0x40
	s_mov_b32 s2, 0xb94c1982
	s_mov_b32 s3, 0x37d75334
	v_lshlrev_b32_e32 v5, 30, v5
	v_fmaak_f32 v7, s2, v6, 0x3c0881c4
	v_cmp_eq_u32_e32 vcc_lo, 0, v9
	s_delay_alu instid0(VALU_DEP_2) | instskip(NEXT) | instid1(VALU_DEP_1)
	v_fmaak_f32 v7, v6, v7, 0xbe2aaa9d
	v_dual_fmaak_f32 v8, s3, v6, 0xbab64f3b :: v_dual_mul_f32 v7, v6, v7
	s_delay_alu instid0(VALU_DEP_1) | instskip(NEXT) | instid1(VALU_DEP_1)
	v_dual_fmaak_f32 v8, v6, v8, 0x3d2aabf7 :: v_dual_fmac_f32 v3, v3, v7
	v_fmaak_f32 v8, v6, v8, 0xbf000004
	s_delay_alu instid0(VALU_DEP_1) | instskip(NEXT) | instid1(VALU_DEP_1)
	v_fma_f32 v6, v6, v8, 1.0
	v_cndmask_b32_e64 v3, -v3, v6, vcc_lo
	v_cmp_class_f32_e64 vcc_lo, v2, 0x1f8
	s_delay_alu instid0(VALU_DEP_2) | instskip(NEXT) | instid1(VALU_DEP_1)
	v_bitop3_b32 v3, v5, v3, 0x80000000 bitop3:0x6c
	v_fma_f32 v3, v3, -0.5, 0.5
	s_delay_alu instid0(VALU_DEP_1)
	v_cndmask_b32_e32 v5, 0x7fc00000, v3, vcc_lo
.LBB0_7:
	s_or_b32 exec_lo, exec_lo, s8
	s_clause 0x1
	s_load_b128 s[8:11], s[0:1], 0x20
	s_load_b64 s[16:17], s[0:1], 0x30
	s_cmp_lt_i32 s14, 1
	s_cbranch_scc1 .LBB0_11
; %bb.8:
	v_lshlrev_b64_e32 v[2:3], 2, v[0:1]
	v_cmp_nle_f32_e32 vcc_lo, 2.0, v4
	s_mov_b32 s3, 0x3e76c4e1
	v_cndmask_b32_e32 v4, 1.0, v5, vcc_lo
	s_wait_kmcnt 0x0
	s_delay_alu instid0(VALU_DEP_3)
	v_add_nc_u64_e32 v[6:7], s[8:9], v[2:3]
	v_add_nc_u64_e32 v[8:9], s[10:11], v[2:3]
	global_load_b32 v2, v[6:7], off
	global_load_b32 v3, v[8:9], off
	v_add_f32_e32 v5, 0xbdcccccd, v4
	s_wait_xcnt 0x1
	s_delay_alu instid0(VALU_DEP_1) | instskip(NEXT) | instid1(VALU_DEP_1)
	v_fma_f32 v6, 0xc0a00000, v5, 1.0
	v_mul_f32_e32 v6, 0x3fc00000, v6
	s_delay_alu instid0(VALU_DEP_1)
	v_fmamk_f32 v5, v5, 0x41200000, v6
	v_cmp_le_f32_e32 vcc_lo, 0, v4
	v_cmp_ge_f32_e64 s0, 0x3dcccccd, v4
	v_dual_add_f32 v7, 0xbe99999a, v4 :: v_dual_add_f32 v6, -0.5, v4
	s_and_b32 s0, vcc_lo, s0
	s_wait_xcnt 0x0
	s_delay_alu instid0(VALU_DEP_1) | instskip(SKIP_3) | instid1(VALU_DEP_4)
	v_fma_f32 v9, 0xc0a00000, v7, 1.0
	v_cndmask_b32_e64 v8, 1.0, 0x3fc00000, s0
	v_cmp_lt_f32_e32 vcc_lo, 0x3dcccccd, v4
	v_cmp_ge_f32_e64 s0, 0x3e99999a, v4
	v_mul_f32_e32 v9, 0x3fc00000, v9
	s_and_b32 vcc_lo, vcc_lo, s0
	v_cmp_ge_f32_e64 s0, 0.5, v4
	v_cndmask_b32_e32 v5, v8, v5, vcc_lo
	v_cmp_lt_f32_e32 vcc_lo, 0x3e99999a, v4
	v_fma_f32 v8, 0xc0a00000, v6, 1.0
	v_fmamk_f32 v7, v7, 0x41480000, v9
	v_add_f32_e32 v9, 0xbf333333, v4
	s_and_b32 vcc_lo, vcc_lo, s0
	s_delay_alu instid0(VALU_DEP_2) | instskip(NEXT) | instid1(VALU_DEP_2)
	v_dual_mul_f32 v8, 0x40200000, v8 :: v_dual_cndmask_b32 v5, v5, v7
	v_fma_f32 v7, 0xc0a00000, v9, 1.0
	v_cmp_lt_f32_e32 vcc_lo, 0.5, v4
	v_cmp_ge_f32_e64 s0, 0x3f333333, v4
	s_delay_alu instid0(VALU_DEP_4) | instskip(NEXT) | instid1(VALU_DEP_4)
	v_fmamk_f32 v6, v6, 0x41700000, v8
	v_mul_f32_e32 v7, 0x40400000, v7
	s_and_b32 vcc_lo, vcc_lo, s0
	v_cmp_ge_f32_e64 s0, 0x3f666666, v4
	s_delay_alu instid0(VALU_DEP_3) | instskip(SKIP_4) | instid1(VALU_DEP_2)
	v_cndmask_b32_e32 v5, v5, v6, vcc_lo
	v_cmp_lt_f32_e32 vcc_lo, 0x3f333333, v4
	v_fmamk_f32 v6, v9, 0x418c0000, v7
	s_and_b32 vcc_lo, vcc_lo, s0
	v_cmp_ge_f32_e64 s0, 1.0, v4
	v_cndmask_b32_e32 v5, v5, v6, vcc_lo
	v_cmp_lt_f32_e32 vcc_lo, 0x3f666666, v4
	s_delay_alu instid0(VALU_DEP_2)
	v_dual_mov_b32 v4, 0 :: v_dual_mul_f32 v5, 0.5, v5
	s_and_b32 s0, vcc_lo, s0
	s_delay_alu instid0(VALU_DEP_1) | instid1(SALU_CYCLE_1)
	v_cndmask_b32_e64 v6, v5, 0x3fe00000, s0
	s_delay_alu instid0(VALU_DEP_2)
	v_mov_b32_e32 v5, v4
.LBB0_9:                                ; =>This Inner Loop Header: Depth=1
	s_load_b32 s0, s[4:5], 0x0
	s_load_b32 s1, s[6:7], 0x0
	s_add_co_i32 s14, s14, -1
	s_wait_xcnt 0x0
	s_add_nc_u64 s[4:5], s[4:5], 4
	s_add_nc_u64 s[6:7], s[6:7], 4
	s_wait_kmcnt 0x0
	v_dual_mov_b32 v8, s0 :: v_dual_mov_b32 v9, s1
	s_wait_loadcnt 0x0
	s_delay_alu instid0(VALU_DEP_1) | instskip(NEXT) | instid1(VALU_DEP_1)
	v_pk_add_f32 v[8:9], v[2:3], v[8:9] neg_lo:[0,1] neg_hi:[0,1]
	v_pk_mul_f32 v[8:9], v[8:9], v[8:9]
	s_delay_alu instid0(VALU_DEP_1) | instskip(NEXT) | instid1(VALU_DEP_1)
	v_add_f32_e32 v8, v8, v9
	v_cmp_neq_f32_e32 vcc_lo, 1.0, v8
	v_cndmask_b32_e32 v7, 1.0, v6, vcc_lo
	s_delay_alu instid0(VALU_DEP_1) | instskip(SKIP_2) | instid1(VALU_DEP_1)
	v_cmp_neq_f32_e32 vcc_lo, 0, v7
	v_cmp_neq_f32_e64 s8, v7, |v7|
	v_cndmask_b32_e32 v8, 1.0, v8, vcc_lo
	v_frexp_mant_f32_e64 v9, |v8|
	s_delay_alu instid0(VALU_DEP_1) | instskip(SKIP_1) | instid1(VALU_DEP_1)
	v_cmp_gt_f32_e32 vcc_lo, 0x3f2aaaab, v9
	v_cndmask_b32_e64 v12, 1.0, 2.0, vcc_lo
	v_mul_f32_e32 v9, v9, v12
	s_delay_alu instid0(VALU_DEP_1) | instskip(SKIP_2) | instid1(VALU_DEP_3)
	v_add_f32_e32 v12, 1.0, v9
	v_cvt_f64_f32_e64 v[10:11], |v8|
	v_cmp_lt_f32_e64 s9, |v8|, 1.0
	v_rcp_f32_e32 v16, v12
	v_dual_add_f32 v14, -1.0, v12 :: v_dual_add_f32 v13, -1.0, v9
	s_xor_b32 s8, s8, s9
	s_delay_alu instid0(VALU_DEP_1)
	v_sub_f32_e32 v9, v9, v14
	s_delay_alu instid0(TRANS32_DEP_1) | instid1(VALU_DEP_2)
	v_mul_f32_e32 v17, v13, v16
	s_delay_alu instid0(VALU_DEP_1) | instskip(SKIP_1) | instid1(VALU_DEP_2)
	v_mul_f32_e32 v14, v12, v17
	v_frexp_exp_i32_f64_e32 v18, v[10:11]
	v_fma_f32 v10, v17, v12, -v14
	s_delay_alu instid0(VALU_DEP_1) | instskip(NEXT) | instid1(VALU_DEP_1)
	v_fmac_f32_e32 v10, v17, v9
	v_add_f32_e32 v12, v14, v10
	s_delay_alu instid0(VALU_DEP_1) | instskip(NEXT) | instid1(VALU_DEP_1)
	v_dual_sub_f32 v15, v13, v12 :: v_dual_mov_b32 v11, v12
	v_pk_add_f32 v[12:13], v[12:13], v[14:15] neg_lo:[0,1] neg_hi:[0,1]
	s_delay_alu instid0(VALU_DEP_1) | instskip(NEXT) | instid1(VALU_DEP_1)
	v_pk_add_f32 v[10:11], v[12:13], v[10:11] neg_lo:[0,1] neg_hi:[0,1]
	v_add_f32_e32 v10, v10, v11
	v_subrev_co_ci_u32_e64 v9, null, 0, v18, vcc_lo
	s_delay_alu instid0(VALU_DEP_1) | instskip(NEXT) | instid1(VALU_DEP_1)
	v_cvt_f32_i32_e32 v9, v9
	v_dual_add_f32 v11, v15, v10 :: v_dual_mul_f32 v10, 0x3f317218, v9
	s_delay_alu instid0(VALU_DEP_1) | instskip(NEXT) | instid1(VALU_DEP_2)
	v_mul_f32_e32 v11, v16, v11
	v_fma_f32 v12, 0x3f317218, v9, -v10
	s_delay_alu instid0(VALU_DEP_2) | instskip(NEXT) | instid1(VALU_DEP_1)
	v_add_f32_e32 v14, v17, v11
	v_dual_fmac_f32 v12, 0xb102e308, v9 :: v_dual_mul_f32 v15, v14, v14
	v_sub_f32_e32 v9, v14, v17
	v_ldexp_f32 v13, v14, 1
	s_delay_alu instid0(VALU_DEP_2) | instskip(NEXT) | instid1(VALU_DEP_1)
	v_dual_sub_f32 v9, v11, v9 :: v_dual_fma_f32 v11, v14, v14, -v15
	v_add_f32_e32 v16, v9, v9
	s_delay_alu instid0(VALU_DEP_1) | instskip(SKIP_1) | instid1(VALU_DEP_2)
	v_fmac_f32_e32 v11, v14, v16
	v_ldexp_f32 v24, v9, 1
	v_add_f32_e32 v16, v15, v11
	s_delay_alu instid0(VALU_DEP_1) | instskip(NEXT) | instid1(VALU_DEP_1)
	v_fmaak_f32 v17, s3, v16, 0x3e91f4c4
	v_fmaak_f32 v17, v16, v17, 0x3ecccdef
	v_sub_f32_e32 v15, v16, v15
	s_delay_alu instid0(VALU_DEP_1) | instskip(NEXT) | instid1(VALU_DEP_1)
	v_dual_sub_f32 v11, v11, v15 :: v_dual_mul_f32 v15, v16, v17
	v_fma_f32 v18, v16, v17, -v15
	s_delay_alu instid0(VALU_DEP_1) | instskip(NEXT) | instid1(VALU_DEP_1)
	v_fmac_f32_e32 v18, v11, v17
	v_add_f32_e32 v17, v15, v18
	s_delay_alu instid0(VALU_DEP_1) | instskip(SKIP_1) | instid1(VALU_DEP_2)
	v_sub_f32_e32 v15, v17, v15
	v_add_f32_e32 v19, 0x3f2aaaaa, v17
	v_sub_f32_e32 v15, v18, v15
	s_delay_alu instid0(VALU_DEP_2) | instskip(NEXT) | instid1(VALU_DEP_1)
	v_add_f32_e32 v18, 0xbf2aaaaa, v19
	v_sub_f32_e32 v17, v17, v18
	s_delay_alu instid0(VALU_DEP_3) | instskip(NEXT) | instid1(VALU_DEP_1)
	v_add_f32_e32 v15, 0x31739010, v15
	v_pk_mul_f32 v[20:21], v[14:15], v[16:17]
	v_pk_add_f32 v[22:23], v[14:15], v[16:17]
	s_delay_alu instid0(VALU_DEP_1) | instskip(NEXT) | instid1(VALU_DEP_1)
	v_dual_fma_f32 v18, v16, v14, -v20 :: v_dual_mov_b32 v21, v23
	v_fmac_f32_e32 v18, v16, v9
	s_delay_alu instid0(VALU_DEP_1) | instskip(NEXT) | instid1(VALU_DEP_1)
	v_fmac_f32_e32 v18, v11, v14
	v_pk_add_f32 v[14:15], v[20:21], v[18:19]
	s_delay_alu instid0(VALU_DEP_1) | instskip(SKIP_1) | instid1(VALU_DEP_2)
	v_dual_mov_b32 v16, v15 :: v_dual_sub_f32 v9, v14, v20
	v_sub_f32_e32 v11, v19, v15
	v_pk_mul_f32 v[16:17], v[14:15], v[16:17]
	s_delay_alu instid0(VALU_DEP_2) | instskip(NEXT) | instid1(VALU_DEP_2)
	v_dual_sub_f32 v9, v18, v9 :: v_dual_add_f32 v11, v23, v11
	v_dual_mov_b32 v17, v13 :: v_dual_fma_f32 v18, v14, v15, -v16
	s_delay_alu instid0(VALU_DEP_1) | instskip(NEXT) | instid1(VALU_DEP_1)
	v_fmac_f32_e32 v18, v14, v11
	v_fmac_f32_e32 v18, v9, v15
	s_delay_alu instid0(VALU_DEP_1) | instskip(NEXT) | instid1(VALU_DEP_1)
	v_add_f32_e32 v11, v16, v18
	v_pk_add_f32 v[14:15], v[10:11], v[12:13]
	s_delay_alu instid0(VALU_DEP_1) | instskip(SKIP_2) | instid1(VALU_DEP_2)
	v_dual_mov_b32 v21, v15 :: v_dual_mov_b32 v13, v14
	v_dual_mov_b32 v20, v11 :: v_dual_mov_b32 v19, v11
	v_dual_mov_b32 v22, v15 :: v_dual_mov_b32 v25, v14
	v_pk_add_f32 v[16:17], v[20:21], v[16:17] neg_lo:[0,1] neg_hi:[0,1]
	s_delay_alu instid0(VALU_DEP_1) | instskip(NEXT) | instid1(VALU_DEP_1)
	v_pk_add_f32 v[16:17], v[18:19], v[16:17] neg_lo:[0,1] neg_hi:[0,1]
	v_add_f32_e32 v9, v24, v16
	s_delay_alu instid0(VALU_DEP_1) | instskip(NEXT) | instid1(VALU_DEP_1)
	v_add_f32_e32 v11, v9, v17
	v_pk_add_f32 v[16:17], v[14:15], v[10:11]
	v_pk_add_f32 v[18:19], v[14:15], v[10:11] neg_lo:[0,1] neg_hi:[0,1]
	s_delay_alu instid0(VALU_DEP_2) | instskip(NEXT) | instid1(VALU_DEP_1)
	v_dual_mov_b32 v24, v11 :: v_dual_mov_b32 v19, v17
	v_pk_add_f32 v[10:11], v[12:13], v[18:19]
	v_mov_b32_e32 v10, v17
	v_pk_add_f32 v[12:13], v[12:13], v[18:19] neg_lo:[0,1] neg_hi:[0,1]
	s_delay_alu instid0(VALU_DEP_3) | instskip(NEXT) | instid1(VALU_DEP_1)
	v_dual_mov_b32 v18, v11 :: v_dual_mov_b32 v13, v11
	v_pk_add_f32 v[14:15], v[18:19], v[14:15] neg_lo:[0,1] neg_hi:[0,1]
	s_delay_alu instid0(VALU_DEP_1) | instskip(NEXT) | instid1(VALU_DEP_1)
	v_dual_mov_b32 v23, v14 :: v_dual_mov_b32 v9, v14
	v_pk_add_f32 v[10:11], v[10:11], v[22:23] neg_lo:[0,1] neg_hi:[0,1]
	s_delay_alu instid0(VALU_DEP_2) | instskip(SKIP_1) | instid1(VALU_DEP_3)
	v_pk_add_f32 v[14:15], v[16:17], v[8:9] neg_lo:[0,1] neg_hi:[0,1]
	v_mov_b32_e32 v14, v12
	v_pk_add_f32 v[10:11], v[24:25], v[10:11] neg_lo:[0,1] neg_hi:[0,1]
	s_delay_alu instid0(VALU_DEP_1) | instskip(NEXT) | instid1(VALU_DEP_1)
	v_pk_add_f32 v[14:15], v[14:15], v[10:11]
	v_mov_b32_e32 v16, v15
	s_delay_alu instid0(VALU_DEP_1) | instskip(NEXT) | instid1(VALU_DEP_1)
	v_pk_add_f32 v[16:17], v[14:15], v[16:17]
	v_pk_add_f32 v[18:19], v[18:19], v[16:17]
	s_delay_alu instid0(VALU_DEP_1) | instskip(NEXT) | instid1(VALU_DEP_1)
	v_dual_mov_b32 v11, v16 :: v_dual_mov_b32 v15, v18
	v_pk_add_f32 v[16:17], v[14:15], v[12:13] neg_lo:[0,1] neg_hi:[0,1]
	s_delay_alu instid0(VALU_DEP_1) | instskip(NEXT) | instid1(VALU_DEP_2)
	v_sub_f32_e32 v9, v14, v16
	v_pk_add_f32 v[10:11], v[10:11], v[16:17] neg_lo:[0,1] neg_hi:[0,1]
	s_delay_alu instid0(VALU_DEP_2) | instskip(NEXT) | instid1(VALU_DEP_1)
	v_sub_f32_e32 v9, v12, v9
	v_add_f32_e32 v9, v10, v9
	s_delay_alu instid0(VALU_DEP_1) | instskip(NEXT) | instid1(VALU_DEP_1)
	v_add_f32_e32 v9, v9, v11
	v_add_f32_e32 v10, v18, v9
	s_delay_alu instid0(VALU_DEP_1) | instskip(SKIP_1) | instid1(VALU_DEP_1)
	v_sub_f32_e32 v11, v10, v18
	v_dual_mul_f32 v12, v7, v10 :: v_dual_mul_f32 v18, 0.5, v7
	v_dual_fma_f32 v10, v7, v10, -v12 :: v_dual_sub_f32 v9, v9, v11
	v_cmp_class_f32_e64 vcc_lo, v12, 0x204
	s_delay_alu instid0(VALU_DEP_2) | instskip(NEXT) | instid1(VALU_DEP_1)
	v_fmac_f32_e32 v10, v7, v9
	v_add_f32_e32 v9, v12, v10
	s_delay_alu instid0(VALU_DEP_1) | instskip(NEXT) | instid1(VALU_DEP_1)
	v_cndmask_b32_e32 v11, v9, v12, vcc_lo
	v_cmp_eq_f32_e32 vcc_lo, 0x42b17218, v11
	v_cmp_neq_f32_e64 s1, 0x7f800000, |v11|
	v_cndmask_b32_e64 v13, 0, 0x37000000, vcc_lo
	v_cmp_gt_f32_e32 vcc_lo, 0, v7
	s_delay_alu instid0(VALU_DEP_2) | instskip(SKIP_1) | instid1(VALU_DEP_2)
	v_dual_sub_f32 v14, v11, v13 :: v_dual_sub_f32 v9, v9, v12
	v_cndmask_b32_e64 v11, 0x7f800000, 0, s8
	v_mul_f32_e32 v15, 0x3fb8aa3b, v14
	v_cmp_nlt_f32_e64 s2, 0x42b17218, v14
	s_delay_alu instid0(VALU_DEP_4) | instskip(NEXT) | instid1(VALU_DEP_3)
	v_sub_f32_e32 v9, v10, v9
	v_fma_f32 v16, 0x3fb8aa3b, v14, -v15
	v_rndne_f32_e32 v17, v15
	s_delay_alu instid0(VALU_DEP_3) | instskip(SKIP_1) | instid1(VALU_DEP_3)
	v_cndmask_b32_e64 v9, 0, v9, s1
	v_cmp_ngt_f32_e64 s1, 0xc2ce8ed0, v14
	v_dual_fmac_f32 v16, 0x32a5705f, v14 :: v_dual_sub_f32 v15, v15, v17
	v_cvt_i32_f32_e32 v12, v17
	s_delay_alu instid0(VALU_DEP_2) | instskip(SKIP_1) | instid1(VALU_DEP_2)
	v_dual_add_f32 v9, v13, v9 :: v_dual_add_f32 v15, v15, v16
	v_trunc_f32_e32 v16, v7
	v_exp_f32_e32 v15, v15
	s_delay_alu instid0(VALU_DEP_1) | instskip(NEXT) | instid1(TRANS32_DEP_1)
	v_cmp_eq_f32_e64 s0, v16, v7
	v_ldexp_f32 v10, v15, v12
	v_trunc_f32_e32 v12, v18
	s_delay_alu instid0(VALU_DEP_2) | instskip(SKIP_1) | instid1(VALU_DEP_2)
	v_cndmask_b32_e64 v10, 0, v10, s1
	v_cmp_eq_f32_e64 s1, 0, v8
	v_cndmask_b32_e64 v10, 0x7f800000, v10, s2
	s_delay_alu instid0(VALU_DEP_4) | instskip(SKIP_1) | instid1(SALU_CYCLE_1)
	v_cmp_neq_f32_e64 s2, v12, v18
	s_xor_b32 s8, vcc_lo, s1
	v_cndmask_b32_e64 v12, 0x7f800000, 0, s8
	s_and_b32 vcc_lo, s0, s2
	v_fma_f32 v9, v10, v9, v10
	v_cmp_class_f32_e64 s0, v10, 0x204
	s_delay_alu instid0(VALU_DEP_1) | instskip(SKIP_1) | instid1(VALU_DEP_2)
	v_dual_cndmask_b32 v13, 1.0, v8, vcc_lo :: v_dual_cndmask_b32 v9, v9, v10, s0
	v_cmp_neq_f32_e64 s0, |v8|, 1.0
	v_bfi_b32 v9, 0x7fffffff, v9, v13
	s_delay_alu instid0(VALU_DEP_2) | instskip(SKIP_2) | instid1(VALU_DEP_3)
	v_dual_cndmask_b32 v10, 1.0, v11, s0 :: v_dual_cndmask_b32 v11, 0, v8, vcc_lo
	v_cmp_class_f32_e64 vcc_lo, v7, 0x204
	v_cmp_class_f32_e64 s0, v8, 0x204
	v_bfi_b32 v11, 0x7fffffff, v12, v11
	s_delay_alu instid0(VALU_DEP_4)
	v_cndmask_b32_e32 v9, v9, v10, vcc_lo
	s_or_b32 vcc_lo, s1, s0
	s_load_b32 s0, s[12:13], 0x0
	s_cmp_eq_u32 s14, 0
	s_wait_xcnt 0x0
	s_add_nc_u64 s[12:13], s[12:13], 4
	v_cndmask_b32_e32 v9, v9, v11, vcc_lo
	s_delay_alu instid0(VALU_DEP_1) | instskip(SKIP_1) | instid1(VALU_DEP_2)
	v_div_scale_f32 v10, null, v9, v9, 1.0
	v_div_scale_f32 v13, vcc_lo, 1.0, v9, 1.0
	v_rcp_f32_e32 v11, v10
	v_nop
	s_delay_alu instid0(TRANS32_DEP_1) | instskip(NEXT) | instid1(VALU_DEP_1)
	v_fma_f32 v12, -v10, v11, 1.0
	v_fmac_f32_e32 v11, v12, v11
	s_delay_alu instid0(VALU_DEP_1) | instskip(NEXT) | instid1(VALU_DEP_1)
	v_mul_f32_e32 v12, v13, v11
	v_fma_f32 v14, -v10, v12, v13
	s_delay_alu instid0(VALU_DEP_1) | instskip(NEXT) | instid1(VALU_DEP_1)
	v_fmac_f32_e32 v12, v14, v11
	v_fma_f32 v10, -v10, v12, v13
	s_delay_alu instid0(VALU_DEP_1) | instskip(SKIP_1) | instid1(VALU_DEP_2)
	v_div_fmas_f32 v10, v10, v11, v12
	v_cmp_o_f32_e32 vcc_lo, v8, v7
	v_div_fixup_f32 v9, v10, v9, 1.0
	s_delay_alu instid0(VALU_DEP_1) | instskip(SKIP_1) | instid1(VALU_DEP_1)
	v_cndmask_b32_e32 v8, 0x7fc00000, v9, vcc_lo
	s_wait_kmcnt 0x0
	v_mul_f32_e32 v9, s0, v8
	s_delay_alu instid0(VALU_DEP_1)
	v_pk_add_f32 v[4:5], v[4:5], v[8:9]
	s_cbranch_scc0 .LBB0_9
; %bb.10:
	s_delay_alu instid0(VALU_DEP_1) | instskip(NEXT) | instid1(VALU_DEP_1)
	v_div_scale_f32 v2, null, v4, v4, v5
	v_rcp_f32_e32 v3, v2
	v_nop
	s_delay_alu instid0(TRANS32_DEP_1) | instskip(NEXT) | instid1(VALU_DEP_1)
	v_fma_f32 v6, -v2, v3, 1.0
	v_fmac_f32_e32 v3, v6, v3
	v_div_scale_f32 v6, vcc_lo, v5, v4, v5
	s_delay_alu instid0(VALU_DEP_1) | instskip(NEXT) | instid1(VALU_DEP_1)
	v_mul_f32_e32 v7, v6, v3
	v_fma_f32 v8, -v2, v7, v6
	s_delay_alu instid0(VALU_DEP_1) | instskip(NEXT) | instid1(VALU_DEP_1)
	v_fmac_f32_e32 v7, v8, v3
	v_fma_f32 v2, -v2, v7, v6
	s_delay_alu instid0(VALU_DEP_1) | instskip(NEXT) | instid1(VALU_DEP_1)
	v_div_fmas_f32 v2, v2, v3, v7
	v_div_fixup_f32 v2, v2, v4, v5
	s_branch .LBB0_12
.LBB0_11:
	v_mov_b32_e32 v2, 0x7fc00000
.LBB0_12:
	s_wait_kmcnt 0x0
	v_lshl_add_u64 v[0:1], v[0:1], 2, s[16:17]
	global_store_b32 v[0:1], v2, off
.LBB0_13:
	s_endpgm
	.section	.rodata,"a",@progbits
	.p2align	6, 0x0
	.amdhsa_kernel _Z11AIDW_KernelPKfS0_S0_iS0_S0_PfifS0_
		.amdhsa_group_segment_fixed_size 0
		.amdhsa_private_segment_fixed_size 0
		.amdhsa_kernarg_size 328
		.amdhsa_user_sgpr_count 2
		.amdhsa_user_sgpr_dispatch_ptr 0
		.amdhsa_user_sgpr_queue_ptr 0
		.amdhsa_user_sgpr_kernarg_segment_ptr 1
		.amdhsa_user_sgpr_dispatch_id 0
		.amdhsa_user_sgpr_kernarg_preload_length 0
		.amdhsa_user_sgpr_kernarg_preload_offset 0
		.amdhsa_user_sgpr_private_segment_size 0
		.amdhsa_wavefront_size32 1
		.amdhsa_uses_dynamic_stack 0
		.amdhsa_enable_private_segment 0
		.amdhsa_system_sgpr_workgroup_id_x 1
		.amdhsa_system_sgpr_workgroup_id_y 0
		.amdhsa_system_sgpr_workgroup_id_z 0
		.amdhsa_system_sgpr_workgroup_info 0
		.amdhsa_system_vgpr_workitem_id 0
		.amdhsa_next_free_vgpr 26
		.amdhsa_next_free_sgpr 18
		.amdhsa_named_barrier_count 0
		.amdhsa_reserve_vcc 1
		.amdhsa_float_round_mode_32 0
		.amdhsa_float_round_mode_16_64 0
		.amdhsa_float_denorm_mode_32 3
		.amdhsa_float_denorm_mode_16_64 3
		.amdhsa_fp16_overflow 0
		.amdhsa_memory_ordered 1
		.amdhsa_forward_progress 1
		.amdhsa_inst_pref_size 30
		.amdhsa_round_robin_scheduling 0
		.amdhsa_exception_fp_ieee_invalid_op 0
		.amdhsa_exception_fp_denorm_src 0
		.amdhsa_exception_fp_ieee_div_zero 0
		.amdhsa_exception_fp_ieee_overflow 0
		.amdhsa_exception_fp_ieee_underflow 0
		.amdhsa_exception_fp_ieee_inexact 0
		.amdhsa_exception_int_div_zero 0
	.end_amdhsa_kernel
	.text
.Lfunc_end0:
	.size	_Z11AIDW_KernelPKfS0_S0_iS0_S0_PfifS0_, .Lfunc_end0-_Z11AIDW_KernelPKfS0_S0_iS0_S0_PfifS0_
                                        ; -- End function
	.set _Z11AIDW_KernelPKfS0_S0_iS0_S0_PfifS0_.num_vgpr, 26
	.set _Z11AIDW_KernelPKfS0_S0_iS0_S0_PfifS0_.num_agpr, 0
	.set _Z11AIDW_KernelPKfS0_S0_iS0_S0_PfifS0_.numbered_sgpr, 18
	.set _Z11AIDW_KernelPKfS0_S0_iS0_S0_PfifS0_.num_named_barrier, 0
	.set _Z11AIDW_KernelPKfS0_S0_iS0_S0_PfifS0_.private_seg_size, 0
	.set _Z11AIDW_KernelPKfS0_S0_iS0_S0_PfifS0_.uses_vcc, 1
	.set _Z11AIDW_KernelPKfS0_S0_iS0_S0_PfifS0_.uses_flat_scratch, 0
	.set _Z11AIDW_KernelPKfS0_S0_iS0_S0_PfifS0_.has_dyn_sized_stack, 0
	.set _Z11AIDW_KernelPKfS0_S0_iS0_S0_PfifS0_.has_recursion, 0
	.set _Z11AIDW_KernelPKfS0_S0_iS0_S0_PfifS0_.has_indirect_call, 0
	.section	.AMDGPU.csdata,"",@progbits
; Kernel info:
; codeLenInByte = 3732
; TotalNumSgprs: 20
; NumVgprs: 26
; ScratchSize: 0
; MemoryBound: 0
; FloatMode: 240
; IeeeMode: 1
; LDSByteSize: 0 bytes/workgroup (compile time only)
; SGPRBlocks: 0
; VGPRBlocks: 1
; NumSGPRsForWavesPerEU: 20
; NumVGPRsForWavesPerEU: 26
; NamedBarCnt: 0
; Occupancy: 16
; WaveLimiterHint : 0
; COMPUTE_PGM_RSRC2:SCRATCH_EN: 0
; COMPUTE_PGM_RSRC2:USER_SGPR: 2
; COMPUTE_PGM_RSRC2:TRAP_HANDLER: 0
; COMPUTE_PGM_RSRC2:TGID_X_EN: 1
; COMPUTE_PGM_RSRC2:TGID_Y_EN: 0
; COMPUTE_PGM_RSRC2:TGID_Z_EN: 0
; COMPUTE_PGM_RSRC2:TIDIG_COMP_CNT: 0
	.text
	.protected	_Z17AIDW_Kernel_TiledPKfS0_S0_iS0_S0_PfifS0_ ; -- Begin function _Z17AIDW_Kernel_TiledPKfS0_S0_iS0_S0_PfifS0_
	.globl	_Z17AIDW_Kernel_TiledPKfS0_S0_iS0_S0_PfifS0_
	.p2align	8
	.type	_Z17AIDW_Kernel_TiledPKfS0_S0_iS0_S0_PfifS0_,@function
_Z17AIDW_Kernel_TiledPKfS0_S0_iS0_S0_PfifS0_: ; @_Z17AIDW_Kernel_TiledPKfS0_S0_iS0_S0_PfifS0_
; %bb.0:
	s_clause 0x1
	s_load_b32 s4, s[0:1], 0x54
	s_load_b64 s[2:3], s[0:1], 0x38
	s_bfe_u32 s5, ttmp6, 0x4000c
	s_and_b32 s6, ttmp6, 15
	s_add_co_i32 s5, s5, 1
	s_getreg_b32 s7, hwreg(HW_REG_IB_STS2, 6, 4)
	s_mul_i32 s5, ttmp9, s5
	s_delay_alu instid0(SALU_CYCLE_1) | instskip(SKIP_4) | instid1(SALU_CYCLE_1)
	s_add_co_i32 s6, s6, s5
	s_wait_kmcnt 0x0
	s_and_b32 s4, s4, 0xffff
	s_cmp_eq_u32 s7, 0
	s_cselect_b32 s5, ttmp9, s6
	v_mad_u32 v2, s5, s4, v0
	s_delay_alu instid0(VALU_DEP_1)
	v_cmp_gt_i32_e32 vcc_lo, s2, v2
	s_and_saveexec_b32 s2, vcc_lo
	s_cbranch_execz .LBB1_17
; %bb.1:
	s_clause 0x1
	s_load_b64 s[4:5], s[0:1], 0x40
	s_load_b96 s[12:14], s[0:1], 0x10
	s_mov_b32 s8, exec_lo
	s_wait_kmcnt 0x0
	global_load_b32 v1, v2, s[4:5] scale_offset
	s_cvt_f32_i32 s2, s14
	s_delay_alu instid0(SALU_CYCLE_3) | instskip(SKIP_1) | instid1(VALU_DEP_2)
	v_div_scale_f32 v3, null, s3, s3, s2
	v_div_scale_f32 v6, vcc_lo, s2, s3, s2
	v_rcp_f32_e32 v4, v3
	v_nop
	v_xor_b32_e32 v3, 0x80000000, v3
	s_delay_alu instid0(TRANS32_DEP_1) | instid1(VALU_DEP_1)
	v_fma_f32 v5, v3, v4, 1.0
	s_delay_alu instid0(VALU_DEP_1) | instskip(NEXT) | instid1(VALU_DEP_1)
	v_fmac_f32_e32 v4, v5, v4
	v_mul_f32_e32 v5, v6, v4
	s_delay_alu instid0(VALU_DEP_1) | instskip(NEXT) | instid1(VALU_DEP_1)
	v_fma_f32 v7, v3, v5, v6
	v_fmac_f32_e32 v5, v7, v4
	s_delay_alu instid0(VALU_DEP_1) | instskip(NEXT) | instid1(VALU_DEP_1)
	v_fmac_f32_e32 v6, v3, v5
	v_div_fmas_f32 v3, v6, v4, v5
	s_delay_alu instid0(VALU_DEP_1) | instskip(NEXT) | instid1(VALU_DEP_1)
	v_div_fixup_f32 v3, v3, s3, s2
	v_readfirstlane_b32 s2, v3
	v_cmp_gt_f32_e32 vcc_lo, 0xf800000, v3
	s_mul_f32 s3, s2, 0x4f800000
	s_cmp_lt_f32 s2, 0xf800000
	s_delay_alu instid0(SALU_CYCLE_2) | instskip(NEXT) | instid1(SALU_CYCLE_1)
	s_cselect_b32 s2, s3, s2
	v_s_sqrt_f32 s3, s2
	s_wait_xcnt 0x0
	s_mov_b32 s5, s2
	s_delay_alu instid0(TRANS32_DEP_1) | instskip(NEXT) | instid1(SALU_CYCLE_1)
	s_add_co_i32 s4, s3, -1
	s_xor_b32 s6, s4, 0x80000000
	s_delay_alu instid0(SALU_CYCLE_1) | instskip(SKIP_1) | instid1(SALU_CYCLE_2)
	s_fmac_f32 s5, s6, s3
	s_mov_b32 s6, s2
	s_cmp_le_f32 s5, 0
	s_cselect_b32 s4, s4, s3
	s_add_co_i32 s5, s3, 1
	s_delay_alu instid0(SALU_CYCLE_1) | instskip(NEXT) | instid1(SALU_CYCLE_1)
	s_xor_b32 s7, s5, 0x80000000
	s_fmac_f32 s6, s7, s3
	s_delay_alu instid0(SALU_CYCLE_3) | instskip(SKIP_1) | instid1(SALU_CYCLE_1)
	s_cmp_gt_f32 s6, 0
	s_cselect_b32 s3, s5, s4
	s_mul_f32 s4, s3, 0x37800000
	s_delay_alu instid0(SALU_CYCLE_3) | instskip(SKIP_1) | instid1(VALU_DEP_1)
	v_mov_b32_e32 v4, s4
	s_load_b128 s[4:7], s[0:1], 0x0
	v_cndmask_b32_e32 v3, s3, v4, vcc_lo
	v_cmp_class_f32_e64 s3, s2, 0x260
	s_delay_alu instid0(VALU_DEP_1) | instskip(NEXT) | instid1(VALU_DEP_1)
	v_cndmask_b32_e64 v3, v3, s2, s3
	v_div_scale_f32 v4, null, v3, v3, 0.5
	v_div_scale_f32 v7, vcc_lo, 0.5, v3, 0.5
	s_delay_alu instid0(VALU_DEP_2)
	v_rcp_f32_e32 v5, v4
	v_nop
	v_xor_b32_e32 v4, 0x80000000, v4
	s_delay_alu instid0(TRANS32_DEP_1) | instid1(VALU_DEP_1)
	v_fma_f32 v6, v4, v5, 1.0
	s_delay_alu instid0(VALU_DEP_1) | instskip(NEXT) | instid1(VALU_DEP_1)
	v_fmac_f32_e32 v5, v6, v5
	v_mul_f32_e32 v6, v7, v5
	s_delay_alu instid0(VALU_DEP_1) | instskip(NEXT) | instid1(VALU_DEP_1)
	v_fma_f32 v8, v4, v6, v7
	v_fmac_f32_e32 v6, v8, v5
	s_delay_alu instid0(VALU_DEP_1) | instskip(NEXT) | instid1(VALU_DEP_1)
	v_fmac_f32_e32 v7, v4, v6
	v_div_fmas_f32 v4, v7, v5, v6
	s_delay_alu instid0(VALU_DEP_1) | instskip(SKIP_1) | instid1(VALU_DEP_1)
	v_div_fixup_f32 v3, v4, v3, 0.5
	s_wait_loadcnt 0x0
	v_div_scale_f32 v4, null, v3, v3, v1
	v_div_scale_f32 v7, vcc_lo, v1, v3, v1
	s_delay_alu instid0(VALU_DEP_2) | instskip(SKIP_1) | instid1(TRANS32_DEP_1)
	v_rcp_f32_e32 v5, v4
	v_nop
	v_fma_f32 v6, -v4, v5, 1.0
	s_delay_alu instid0(VALU_DEP_1) | instskip(NEXT) | instid1(VALU_DEP_1)
	v_fmac_f32_e32 v5, v6, v5
	v_mul_f32_e32 v6, v7, v5
	s_delay_alu instid0(VALU_DEP_1) | instskip(NEXT) | instid1(VALU_DEP_1)
	v_fma_f32 v8, -v4, v6, v7
	v_fmac_f32_e32 v6, v8, v5
	s_delay_alu instid0(VALU_DEP_1) | instskip(NEXT) | instid1(VALU_DEP_1)
	v_fma_f32 v4, -v4, v6, v7
	v_div_fmas_f32 v4, v4, v5, v6
	v_mov_b32_e32 v6, 0
	s_delay_alu instid0(VALU_DEP_2) | instskip(SKIP_1) | instid1(VALU_DEP_2)
	v_div_fixup_f32 v1, v4, v3, v1
	v_ashrrev_i32_e32 v3, 31, v2
	v_cmpx_le_f32_e32 0, v1
	s_cbranch_execz .LBB1_7
; %bb.2:
	v_mul_f32_e32 v4, 0x3fc90fda, v1
                                        ; implicit-def: $vgpr6
                                        ; implicit-def: $vgpr5
	s_mov_b32 s3, exec_lo
	s_delay_alu instid0(VALU_DEP_1)
	v_cmpx_ngt_f32_e64 0x48000000, |v4|
	s_xor_b32 s9, exec_lo, s3
	s_cbranch_execz .LBB1_4
; %bb.3:
	v_and_b32_e32 v5, 0x7fffffff, v4
	s_mov_b32 s2, 0x7fffff
	v_mov_b32_e32 v7, 0
	s_delay_alu instid0(VALU_DEP_2) | instskip(SKIP_2) | instid1(VALU_DEP_2)
	v_and_or_b32 v6, v5, s2, 0x800000
	s_mov_b64 s[2:3], 0xfe5163ab
	v_lshrrev_b32_e32 v5, 23, v5
	v_mul_u64_e32 v[8:9], s[2:3], v[6:7]
	s_delay_alu instid0(VALU_DEP_1) | instskip(SKIP_2) | instid1(VALU_DEP_3)
	v_dual_mov_b32 v10, v9 :: v_dual_mov_b32 v11, v7
	v_dual_mov_b32 v13, v7 :: v_dual_mov_b32 v15, v7
	;; [unrolled: 1-line block ×3, first 2 shown]
	v_mad_nc_u64_u32 v[10:11], 0x3c439041, v6, v[10:11]
	s_delay_alu instid0(VALU_DEP_1) | instskip(NEXT) | instid1(VALU_DEP_1)
	v_mov_b32_e32 v12, v11
	v_mad_nc_u64_u32 v[12:13], 0xdb629599, v6, v[12:13]
	s_delay_alu instid0(VALU_DEP_1) | instskip(NEXT) | instid1(VALU_DEP_1)
	v_mov_b32_e32 v14, v13
	;; [unrolled: 3-line block ×3, first 2 shown]
	v_mad_nc_u64_u32 v[16:17], 0xfc2757d1, v6, v[16:17]
	s_delay_alu instid0(VALU_DEP_1) | instskip(NEXT) | instid1(VALU_DEP_1)
	v_dual_mov_b32 v19, v7 :: v_dual_mov_b32 v18, v17
	v_mad_nc_u64_u32 v[18:19], 0x4e441529, v6, v[18:19]
	s_delay_alu instid0(VALU_DEP_1) | instskip(NEXT) | instid1(VALU_DEP_1)
	v_dual_mov_b32 v20, v19 :: v_dual_add_nc_u32 v5, 0xffffff88, v5
	v_cmp_lt_u32_e32 vcc_lo, 63, v5
	s_delay_alu instid0(VALU_DEP_2) | instskip(SKIP_2) | instid1(VALU_DEP_2)
	v_mad_nc_u64_u32 v[6:7], 0xa2f9836e, v6, v[20:21]
	v_cndmask_b32_e64 v9, 0, 0xffffffc0, vcc_lo
	v_dual_cndmask_b32 v11, v18, v14 :: v_dual_cndmask_b32 v8, v12, v8
	v_add_nc_u32_e32 v5, v9, v5
	s_delay_alu instid0(VALU_DEP_1) | instskip(SKIP_1) | instid1(VALU_DEP_2)
	v_cmp_lt_u32_e64 s2, 31, v5
	v_dual_cndmask_b32 v6, v6, v16 :: v_dual_cndmask_b32 v7, v7, v18
	v_cndmask_b32_e64 v9, 0, 0xffffffe0, s2
	s_delay_alu instid0(VALU_DEP_1) | instskip(NEXT) | instid1(VALU_DEP_1)
	v_add_nc_u32_e32 v5, v9, v5
	v_cmp_lt_u32_e64 s3, 31, v5
	s_delay_alu instid0(VALU_DEP_1) | instskip(NEXT) | instid1(VALU_DEP_1)
	v_cndmask_b32_e64 v9, 0, 0xffffffe0, s3
	v_dual_cndmask_b32 v13, v16, v12, vcc_lo :: v_dual_add_nc_u32 v5, v9, v5
	v_cndmask_b32_e32 v9, v14, v10, vcc_lo
	v_dual_cndmask_b32 v10, v6, v11, s2 :: v_dual_cndmask_b32 v6, v7, v6, s2
	s_delay_alu instid0(VALU_DEP_3) | instskip(NEXT) | instid1(VALU_DEP_4)
	v_cndmask_b32_e64 v7, v11, v13, s2
	v_sub_nc_u32_e32 v11, 32, v5
	s_delay_alu instid0(VALU_DEP_4) | instskip(SKIP_2) | instid1(VALU_DEP_3)
	v_cndmask_b32_e64 v13, v13, v9, s2
	v_cmp_eq_u32_e32 vcc_lo, 0, v5
	v_cndmask_b32_e64 v6, v6, v10, s3
	v_dual_cndmask_b32 v10, v10, v7, s3 :: v_dual_cndmask_b32 v7, v7, v13, s3
	s_delay_alu instid0(VALU_DEP_1) | instskip(NEXT) | instid1(VALU_DEP_2)
	v_alignbit_b32 v14, v6, v10, v11
	v_alignbit_b32 v12, v10, v7, v11
	s_delay_alu instid0(VALU_DEP_2) | instskip(NEXT) | instid1(VALU_DEP_1)
	v_dual_cndmask_b32 v5, v14, v6, vcc_lo :: v_dual_cndmask_b32 v6, v9, v8, s2
	v_bfe_u32 v9, v5, 29, 1
	s_delay_alu instid0(VALU_DEP_1) | instskip(NEXT) | instid1(VALU_DEP_1)
	v_dual_cndmask_b32 v8, v12, v10, vcc_lo :: v_dual_sub_nc_u32 v12, 0, v9
	v_alignbit_b32 v10, v5, v8, 30
	s_delay_alu instid0(VALU_DEP_1) | instskip(NEXT) | instid1(VALU_DEP_1)
	v_dual_cndmask_b32 v6, v13, v6, s3 :: v_dual_bitop2_b32 v10, v10, v12 bitop3:0x14
	v_alignbit_b32 v11, v7, v6, v11
	s_delay_alu instid0(VALU_DEP_1) | instskip(NEXT) | instid1(VALU_DEP_3)
	v_cndmask_b32_e32 v7, v11, v7, vcc_lo
	v_clz_i32_u32_e32 v11, v10
	s_delay_alu instid0(VALU_DEP_2) | instskip(NEXT) | instid1(VALU_DEP_2)
	v_alignbit_b32 v6, v7, v6, 30
	v_min_u32_e32 v11, 32, v11
	s_delay_alu instid0(VALU_DEP_2) | instskip(SKIP_1) | instid1(VALU_DEP_1)
	v_xor_b32_e32 v6, v6, v12
	v_alignbit_b32 v8, v8, v7, 30
	v_dual_lshlrev_b32 v13, 23, v11 :: v_dual_bitop2_b32 v7, v8, v12 bitop3:0x14
	v_dual_sub_nc_u32 v8, 31, v11 :: v_dual_lshrrev_b32 v12, 29, v5
	s_delay_alu instid0(VALU_DEP_1) | instskip(SKIP_1) | instid1(VALU_DEP_3)
	v_alignbit_b32 v10, v10, v7, v8
	v_alignbit_b32 v6, v7, v6, v8
	v_lshlrev_b32_e32 v7, 31, v12
	s_delay_alu instid0(VALU_DEP_2) | instskip(NEXT) | instid1(VALU_DEP_2)
	v_alignbit_b32 v8, v10, v6, 9
	v_dual_lshrrev_b32 v10, 9, v10 :: v_dual_bitop2_b32 v12, 0.5, v7 bitop3:0x54
	s_delay_alu instid0(VALU_DEP_2) | instskip(NEXT) | instid1(VALU_DEP_2)
	v_clz_i32_u32_e32 v14, v8
	v_sub_nc_u32_e32 v12, v12, v13
	v_or_b32_e32 v7, 0x33000000, v7
	s_delay_alu instid0(VALU_DEP_3) | instskip(NEXT) | instid1(VALU_DEP_1)
	v_min_u32_e32 v13, 32, v14
	v_add_lshl_u32 v11, v13, v11, 23
	s_delay_alu instid0(VALU_DEP_4) | instskip(SKIP_1) | instid1(VALU_DEP_2)
	v_or_b32_e32 v10, v10, v12
	v_not_b32_e32 v12, v13
	v_dual_mul_f32 v14, 0x3fc90fda, v10 :: v_dual_sub_nc_u32 v7, v7, v11
	s_delay_alu instid0(VALU_DEP_2) | instskip(NEXT) | instid1(VALU_DEP_2)
	v_alignbit_b32 v6, v8, v6, v12
	v_fma_f32 v8, 0x3fc90fda, v10, -v14
	s_delay_alu instid0(VALU_DEP_2) | instskip(NEXT) | instid1(VALU_DEP_2)
	v_lshrrev_b32_e32 v6, 9, v6
	v_fmamk_f32 v8, v10, 0x33a22168, v8
	s_delay_alu instid0(VALU_DEP_2) | instskip(NEXT) | instid1(VALU_DEP_1)
	v_or_b32_e32 v6, v7, v6
	v_fmac_f32_e32 v8, 0x3fc90fda, v6
	s_delay_alu instid0(VALU_DEP_1) | instskip(NEXT) | instid1(VALU_DEP_1)
	v_dual_add_f32 v5, v14, v8 :: v_dual_lshrrev_b32 v6, 30, v5
	v_add_nc_u32_e32 v6, v9, v6
.LBB1_4:
	s_and_not1_saveexec_b32 s2, s9
; %bb.5:
	v_mul_f32_e64 v5, 0x3f22f983, |v4|
	s_delay_alu instid0(VALU_DEP_1) | instskip(NEXT) | instid1(VALU_DEP_1)
	v_rndne_f32_e32 v6, v5
	v_fma_f32 v5, 0xbfc90fda, v6, |v4|
	s_delay_alu instid0(VALU_DEP_1) | instskip(NEXT) | instid1(VALU_DEP_1)
	v_fmamk_f32 v5, v6, 0xb3a22168, v5
	v_fmamk_f32 v5, v6, 0xa7c234c4, v5
	v_cvt_i32_f32_e32 v6, v6
; %bb.6:
	s_or_b32 exec_lo, exec_lo, s2
	s_delay_alu instid0(VALU_DEP_1) | instskip(SKIP_3) | instid1(VALU_DEP_2)
	v_dual_mul_f32 v7, v5, v5 :: v_dual_bitop2_b32 v10, 1, v6 bitop3:0x40
	s_mov_b32 s2, 0xb94c1982
	s_mov_b32 s3, 0x37d75334
	v_lshlrev_b32_e32 v6, 30, v6
	v_fmaak_f32 v8, s2, v7, 0x3c0881c4
	v_cmp_eq_u32_e32 vcc_lo, 0, v10
	s_delay_alu instid0(VALU_DEP_2) | instskip(NEXT) | instid1(VALU_DEP_1)
	v_fmaak_f32 v8, v7, v8, 0xbe2aaa9d
	v_dual_fmaak_f32 v9, s3, v7, 0xbab64f3b :: v_dual_mul_f32 v8, v7, v8
	s_delay_alu instid0(VALU_DEP_1) | instskip(NEXT) | instid1(VALU_DEP_2)
	v_fmaak_f32 v9, v7, v9, 0x3d2aabf7
	v_fmac_f32_e32 v5, v5, v8
	s_delay_alu instid0(VALU_DEP_2) | instskip(NEXT) | instid1(VALU_DEP_1)
	v_fmaak_f32 v9, v7, v9, 0xbf000004
	v_fma_f32 v7, v7, v9, 1.0
	s_delay_alu instid0(VALU_DEP_1) | instskip(SKIP_1) | instid1(VALU_DEP_2)
	v_cndmask_b32_e64 v5, -v5, v7, vcc_lo
	v_cmp_class_f32_e64 vcc_lo, v4, 0x1f8
	v_bitop3_b32 v5, v6, v5, 0x80000000 bitop3:0x6c
	s_delay_alu instid0(VALU_DEP_1) | instskip(NEXT) | instid1(VALU_DEP_1)
	v_fma_f32 v5, v5, -0.5, 0.5
	v_cndmask_b32_e32 v6, 0x7fc00000, v5, vcc_lo
.LBB1_7:
	s_or_b32 exec_lo, exec_lo, s8
	s_clause 0x1
	s_load_b128 s[8:11], s[0:1], 0x20
	s_load_b64 s[16:17], s[0:1], 0x30
	v_mov_b32_e32 v4, 0x7fc00000
	s_cmp_lt_i32 s14, 0xffffff02
	s_cbranch_scc1 .LBB1_16
; %bb.8:
	v_lshlrev_b64_e32 v[4:5], 2, v[2:3]
	v_cmp_nle_f32_e32 vcc_lo, 2.0, v1
	s_wait_xcnt 0x0
	s_add_co_i32 s1, s14, -1
	s_delay_alu instid0(SALU_CYCLE_1)
	s_ashr_i32 s2, s1, 31
	v_cndmask_b32_e32 v1, 1.0, v6, vcc_lo
	s_wait_kmcnt 0x0
	v_add_nc_u64_e32 v[8:9], s[8:9], v[4:5]
	v_add_nc_u64_e32 v[10:11], s[10:11], v[4:5]
	s_lshr_b32 s2, s2, 24
	s_mov_b32 s9, 0
	v_add_f32_e32 v6, 0xbdcccccd, v1
	s_add_co_i32 s1, s1, s2
	s_mov_b32 s8, 0x3e76c4e1
	global_load_b32 v4, v[8:9], off
	global_load_b32 v5, v[10:11], off
	v_fma_f32 v7, 0xc0a00000, v6, 1.0
	s_delay_alu instid0(VALU_DEP_1) | instskip(NEXT) | instid1(VALU_DEP_1)
	v_mul_f32_e32 v7, 0x3fc00000, v7
	v_fmamk_f32 v6, v6, 0x41200000, v7
	v_cmp_le_f32_e32 vcc_lo, 0, v1
	v_cmp_ge_f32_e64 s0, 0x3dcccccd, v1
	s_wait_xcnt 0x1
	v_dual_add_f32 v8, 0xbe99999a, v1 :: v_dual_add_f32 v7, -0.5, v1
	s_and_b32 s0, vcc_lo, s0
	s_wait_xcnt 0x0
	s_delay_alu instid0(VALU_DEP_1) | instskip(SKIP_3) | instid1(VALU_DEP_4)
	v_fma_f32 v10, 0xc0a00000, v8, 1.0
	v_cndmask_b32_e64 v9, 0, 0x3fc00000, s0
	v_cmp_lt_f32_e32 vcc_lo, 0x3dcccccd, v1
	v_cmp_ge_f32_e64 s0, 0x3e99999a, v1
	v_mul_f32_e32 v10, 0x3fc00000, v10
	s_and_b32 vcc_lo, vcc_lo, s0
	v_cmp_ge_f32_e64 s0, 0.5, v1
	v_cndmask_b32_e32 v6, v9, v6, vcc_lo
	v_cmp_lt_f32_e32 vcc_lo, 0x3e99999a, v1
	v_fma_f32 v9, 0xc0a00000, v7, 1.0
	v_fmamk_f32 v8, v8, 0x41480000, v10
	v_add_f32_e32 v10, 0xbf333333, v1
	s_and_b32 vcc_lo, vcc_lo, s0
	s_delay_alu instid0(VALU_DEP_2) | instskip(NEXT) | instid1(VALU_DEP_2)
	v_dual_mul_f32 v9, 0x40200000, v9 :: v_dual_cndmask_b32 v6, v6, v8
	v_fma_f32 v8, 0xc0a00000, v10, 1.0
	v_cmp_lt_f32_e32 vcc_lo, 0.5, v1
	v_cmp_ge_f32_e64 s0, 0x3f333333, v1
	s_delay_alu instid0(VALU_DEP_4) | instskip(NEXT) | instid1(VALU_DEP_4)
	v_fmamk_f32 v7, v7, 0x41700000, v9
	v_mul_f32_e32 v8, 0x40400000, v8
	s_and_b32 vcc_lo, vcc_lo, s0
	v_cmp_ge_f32_e64 s0, 0x3f666666, v1
	s_delay_alu instid0(VALU_DEP_3) | instskip(SKIP_4) | instid1(VALU_DEP_2)
	v_cndmask_b32_e32 v6, v6, v7, vcc_lo
	v_cmp_lt_f32_e32 vcc_lo, 0x3f333333, v1
	v_fmamk_f32 v7, v10, 0x418c0000, v8
	s_and_b32 vcc_lo, vcc_lo, s0
	v_cmp_ge_f32_e64 s0, 1.0, v1
	v_cndmask_b32_e32 v6, v6, v7, vcc_lo
	v_cmp_lt_f32_e32 vcc_lo, 0x3f666666, v1
	s_delay_alu instid0(VALU_DEP_2) | instskip(SKIP_1) | instid1(VALU_DEP_1)
	v_dual_mul_f32 v6, 0.5, v6 :: v_dual_lshlrev_b32 v1, 2, v0
	s_and_b32 s0, vcc_lo, s0
	v_add_nc_u32_e32 v9, 0x400, v1
	v_add_nc_u32_e32 v10, 0x800, v1
	s_delay_alu instid0(VALU_DEP_3) | instskip(SKIP_2) | instid1(SALU_CYCLE_1)
	v_cndmask_b32_e64 v8, v6, 0x3fe00000, s0
	v_mov_b64_e32 v[6:7], 0
	s_ashr_i32 s0, s1, 8
	s_max_i32 s3, s0, 0
.LBB1_9:                                ; =>This Loop Header: Depth=1
                                        ;     Child Loop BB1_12 Depth 2
	s_lshl_b32 s1, s9, 8
	s_delay_alu instid0(SALU_CYCLE_1) | instskip(NEXT) | instid1(SALU_CYCLE_1)
	s_sub_co_i32 s0, s14, s1
	s_min_i32 s0, s0, 0x100
	s_delay_alu instid0(SALU_CYCLE_1)
	v_cmp_gt_i32_e32 vcc_lo, s0, v0
	s_and_saveexec_b32 s0, vcc_lo
	s_cbranch_execz .LBB1_11
; %bb.10:                               ;   in Loop: Header=BB1_9 Depth=1
	v_add_nc_u32_e32 v11, s1, v0
	s_clause 0x2
	global_load_b32 v12, v11, s[4:5] scale_offset
	global_load_b32 v13, v11, s[6:7] scale_offset
	;; [unrolled: 1-line block ×3, first 2 shown]
	s_wait_loadcnt 0x2
	ds_store_b32 v1, v12
	s_wait_loadcnt 0x1
	ds_store_b32 v9, v13
	;; [unrolled: 2-line block ×3, first 2 shown]
.LBB1_11:                               ;   in Loop: Header=BB1_9 Depth=1
	s_or_b32 exec_lo, exec_lo, s0
	s_mov_b32 s10, 0
	s_wait_loadcnt_dscnt 0x0
	s_barrier_signal -1
	s_barrier_wait -1
.LBB1_12:                               ;   Parent Loop BB1_9 Depth=1
                                        ; =>  This Inner Loop Header: Depth=2
	v_mov_b32_e32 v11, s10
	s_add_co_i32 s10, s10, 4
	ds_load_2addr_stride64_b32 v[12:13], v11 offset1:4
	s_wait_dscnt 0x0
	v_pk_add_f32 v[12:13], v[4:5], v[12:13] neg_lo:[0,1] neg_hi:[0,1]
	s_delay_alu instid0(VALU_DEP_1) | instskip(NEXT) | instid1(VALU_DEP_1)
	v_pk_mul_f32 v[12:13], v[12:13], v[12:13]
	v_add_f32_e32 v13, v12, v13
	ds_load_b32 v11, v11 offset:2048
	v_cmp_neq_f32_e32 vcc_lo, 1.0, v13
	v_cndmask_b32_e32 v12, 1.0, v8, vcc_lo
	s_delay_alu instid0(VALU_DEP_1) | instskip(SKIP_2) | instid1(VALU_DEP_2)
	v_cmp_neq_f32_e32 vcc_lo, 0, v12
	v_cndmask_b32_e32 v13, 1.0, v13, vcc_lo
	v_cmp_neq_f32_e64 s11, v12, |v12|
	v_frexp_mant_f32_e64 v16, |v13|
	v_cvt_f64_f32_e64 v[14:15], |v13|
	v_cmp_lt_f32_e64 s15, |v13|, 1.0
	s_delay_alu instid0(VALU_DEP_3) | instskip(SKIP_2) | instid1(VALU_DEP_1)
	v_cmp_gt_f32_e32 vcc_lo, 0x3f2aaaab, v16
	s_xor_b32 s11, s11, s15
	v_cndmask_b32_e64 v17, 1.0, 2.0, vcc_lo
	v_mul_f32_e32 v16, v16, v17
	s_delay_alu instid0(VALU_DEP_1) | instskip(NEXT) | instid1(VALU_DEP_1)
	v_add_f32_e32 v19, 1.0, v16
	v_dual_add_f32 v18, -1.0, v19 :: v_dual_add_f32 v17, -1.0, v16
	v_rcp_f32_e32 v20, v19
	s_delay_alu instid0(VALU_DEP_1) | instskip(SKIP_1) | instid1(TRANS32_DEP_1)
	v_sub_f32_e32 v16, v16, v18
	v_frexp_exp_i32_f64_e32 v22, v[14:15]
	v_mul_f32_e32 v21, v17, v20
	s_delay_alu instid0(VALU_DEP_1) | instskip(NEXT) | instid1(VALU_DEP_1)
	v_mul_f32_e32 v18, v19, v21
	v_fma_f32 v14, v21, v19, -v18
	s_delay_alu instid0(VALU_DEP_1) | instskip(NEXT) | instid1(VALU_DEP_1)
	v_fmac_f32_e32 v14, v21, v16
	v_add_f32_e32 v16, v18, v14
	s_delay_alu instid0(VALU_DEP_1) | instskip(NEXT) | instid1(VALU_DEP_1)
	v_dual_sub_f32 v19, v17, v16 :: v_dual_mov_b32 v15, v16
	v_pk_add_f32 v[16:17], v[16:17], v[18:19] neg_lo:[0,1] neg_hi:[0,1]
	s_delay_alu instid0(VALU_DEP_1) | instskip(SKIP_1) | instid1(VALU_DEP_2)
	v_pk_add_f32 v[14:15], v[16:17], v[14:15] neg_lo:[0,1] neg_hi:[0,1]
	v_subrev_co_ci_u32_e64 v16, null, 0, v22, vcc_lo
	v_add_f32_e32 v14, v14, v15
	s_delay_alu instid0(VALU_DEP_2) | instskip(NEXT) | instid1(VALU_DEP_2)
	v_cvt_f32_i32_e32 v15, v16
	v_add_f32_e32 v16, v19, v14
	s_delay_alu instid0(VALU_DEP_1) | instskip(NEXT) | instid1(VALU_DEP_1)
	v_dual_mul_f32 v14, 0x3f317218, v15 :: v_dual_mul_f32 v19, v20, v16
	v_fma_f32 v16, 0x3f317218, v15, -v14
	s_delay_alu instid0(VALU_DEP_2) | instskip(NEXT) | instid1(VALU_DEP_1)
	v_add_f32_e32 v18, v21, v19
	v_dual_fmac_f32 v16, 0xb102e308, v15 :: v_dual_sub_f32 v15, v18, v21
	v_mul_f32_e32 v21, v18, v18
	v_ldexp_f32 v17, v18, 1
	s_delay_alu instid0(VALU_DEP_2) | instskip(NEXT) | instid1(VALU_DEP_1)
	v_dual_sub_f32 v15, v19, v15 :: v_dual_fma_f32 v19, v18, v18, -v21
	v_add_f32_e32 v20, v15, v15
	v_ldexp_f32 v28, v15, 1
	s_delay_alu instid0(VALU_DEP_2) | instskip(NEXT) | instid1(VALU_DEP_1)
	v_fmac_f32_e32 v19, v18, v20
	v_add_f32_e32 v20, v21, v19
	s_delay_alu instid0(VALU_DEP_1) | instskip(NEXT) | instid1(VALU_DEP_1)
	v_dual_fmaak_f32 v22, s8, v20, 0x3e91f4c4 :: v_dual_sub_f32 v21, v20, v21
	v_dual_sub_f32 v29, v19, v21 :: v_dual_fmaak_f32 v22, v20, v22, 0x3ecccdef
	s_delay_alu instid0(VALU_DEP_1) | instskip(NEXT) | instid1(VALU_DEP_1)
	v_mul_f32_e32 v19, v20, v22
	v_fma_f32 v21, v20, v22, -v19
	s_delay_alu instid0(VALU_DEP_1) | instskip(NEXT) | instid1(VALU_DEP_1)
	v_fmac_f32_e32 v21, v29, v22
	v_add_f32_e32 v22, v19, v21
	s_delay_alu instid0(VALU_DEP_1) | instskip(NEXT) | instid1(VALU_DEP_1)
	v_sub_f32_e32 v19, v22, v19
	v_sub_f32_e32 v19, v21, v19
	v_add_f32_e32 v23, 0x3f2aaaaa, v22
	s_delay_alu instid0(VALU_DEP_2) | instskip(NEXT) | instid1(VALU_DEP_2)
	v_add_f32_e32 v19, 0x31739010, v19
	v_add_f32_e32 v21, 0xbf2aaaaa, v23
	s_delay_alu instid0(VALU_DEP_1) | instskip(NEXT) | instid1(VALU_DEP_1)
	v_sub_f32_e32 v21, v22, v21
	v_pk_mul_f32 v[24:25], v[18:19], v[20:21]
	v_pk_add_f32 v[26:27], v[18:19], v[20:21]
	s_delay_alu instid0(VALU_DEP_1) | instskip(NEXT) | instid1(VALU_DEP_1)
	v_dual_fma_f32 v22, v20, v18, -v24 :: v_dual_mov_b32 v25, v27
	v_fmac_f32_e32 v22, v20, v15
	s_delay_alu instid0(VALU_DEP_1) | instskip(NEXT) | instid1(VALU_DEP_1)
	v_fmac_f32_e32 v22, v29, v18
	v_pk_add_f32 v[18:19], v[24:25], v[22:23]
	s_delay_alu instid0(VALU_DEP_1) | instskip(SKIP_1) | instid1(VALU_DEP_2)
	v_dual_mov_b32 v20, v19 :: v_dual_sub_f32 v15, v18, v24
	v_sub_f32_e32 v23, v23, v19
	v_pk_mul_f32 v[20:21], v[18:19], v[20:21]
	s_delay_alu instid0(VALU_DEP_3) | instskip(NEXT) | instid1(VALU_DEP_3)
	v_dual_sub_f32 v15, v22, v15 :: v_dual_mov_b32 v21, v17
	v_add_f32_e32 v23, v27, v23
	s_delay_alu instid0(VALU_DEP_3) | instskip(NEXT) | instid1(VALU_DEP_1)
	v_fma_f32 v22, v18, v19, -v20
	v_fmac_f32_e32 v22, v18, v23
	s_delay_alu instid0(VALU_DEP_1) | instskip(NEXT) | instid1(VALU_DEP_1)
	v_fmac_f32_e32 v22, v15, v19
	v_add_f32_e32 v15, v20, v22
	s_delay_alu instid0(VALU_DEP_1) | instskip(SKIP_1) | instid1(VALU_DEP_2)
	v_pk_add_f32 v[18:19], v[14:15], v[16:17]
	v_dual_mov_b32 v24, v15 :: v_dual_mov_b32 v23, v15
	v_dual_mov_b32 v25, v19 :: v_dual_mov_b32 v29, v18
	v_mov_b32_e32 v17, v18
	s_delay_alu instid0(VALU_DEP_2) | instskip(NEXT) | instid1(VALU_DEP_1)
	v_pk_add_f32 v[20:21], v[24:25], v[20:21] neg_lo:[0,1] neg_hi:[0,1]
	v_pk_add_f32 v[20:21], v[22:23], v[20:21] neg_lo:[0,1] neg_hi:[0,1]
	s_delay_alu instid0(VALU_DEP_1) | instskip(NEXT) | instid1(VALU_DEP_1)
	v_dual_mov_b32 v26, v19 :: v_dual_add_f32 v15, v28, v20
	v_add_f32_e32 v15, v15, v21
	s_delay_alu instid0(VALU_DEP_1) | instskip(SKIP_1) | instid1(VALU_DEP_2)
	v_pk_add_f32 v[20:21], v[18:19], v[14:15]
	v_pk_add_f32 v[22:23], v[18:19], v[14:15] neg_lo:[0,1] neg_hi:[0,1]
	v_dual_mov_b32 v23, v21 :: v_dual_mov_b32 v28, v15
	s_delay_alu instid0(VALU_DEP_1) | instskip(SKIP_1) | instid1(VALU_DEP_2)
	v_pk_add_f32 v[14:15], v[16:17], v[22:23]
	v_pk_add_f32 v[16:17], v[16:17], v[22:23] neg_lo:[0,1] neg_hi:[0,1]
	v_dual_mov_b32 v14, v21 :: v_dual_mov_b32 v22, v15
	v_mov_b32_e32 v17, v15
	s_delay_alu instid0(VALU_DEP_2) | instskip(NEXT) | instid1(VALU_DEP_1)
	v_pk_add_f32 v[18:19], v[22:23], v[18:19] neg_lo:[0,1] neg_hi:[0,1]
	v_dual_mov_b32 v27, v18 :: v_dual_mov_b32 v19, v18
	s_delay_alu instid0(VALU_DEP_1) | instskip(NEXT) | instid1(VALU_DEP_2)
	v_pk_add_f32 v[14:15], v[14:15], v[26:27] neg_lo:[0,1] neg_hi:[0,1]
	v_pk_add_f32 v[18:19], v[20:21], v[18:19] neg_lo:[0,1] neg_hi:[0,1]
	v_mov_b32_e32 v18, v16
	s_delay_alu instid0(VALU_DEP_3) | instskip(NEXT) | instid1(VALU_DEP_1)
	v_pk_add_f32 v[14:15], v[28:29], v[14:15] neg_lo:[0,1] neg_hi:[0,1]
	v_pk_add_f32 v[18:19], v[18:19], v[14:15]
	s_delay_alu instid0(VALU_DEP_1) | instskip(NEXT) | instid1(VALU_DEP_1)
	v_mov_b32_e32 v20, v19
	v_pk_add_f32 v[20:21], v[18:19], v[20:21]
	s_delay_alu instid0(VALU_DEP_1) | instskip(SKIP_1) | instid1(VALU_DEP_2)
	v_pk_add_f32 v[22:23], v[22:23], v[20:21]
	v_dual_mov_b32 v15, v20 :: v_dual_mul_f32 v23, 0.5, v12
	v_mov_b32_e32 v19, v22
	s_delay_alu instid0(VALU_DEP_1) | instskip(NEXT) | instid1(VALU_DEP_1)
	v_pk_add_f32 v[20:21], v[18:19], v[16:17] neg_lo:[0,1] neg_hi:[0,1]
	v_sub_f32_e32 v17, v18, v20
	s_delay_alu instid0(VALU_DEP_2) | instskip(NEXT) | instid1(VALU_DEP_2)
	v_pk_add_f32 v[14:15], v[14:15], v[20:21] neg_lo:[0,1] neg_hi:[0,1]
	v_sub_f32_e32 v16, v16, v17
	s_delay_alu instid0(VALU_DEP_1) | instskip(NEXT) | instid1(VALU_DEP_1)
	v_add_f32_e32 v14, v14, v16
	v_add_f32_e32 v14, v14, v15
	s_delay_alu instid0(VALU_DEP_1) | instskip(NEXT) | instid1(VALU_DEP_1)
	v_add_f32_e32 v15, v22, v14
	v_dual_sub_f32 v16, v15, v22 :: v_dual_mul_f32 v17, v12, v15
	s_delay_alu instid0(VALU_DEP_1) | instskip(SKIP_1) | instid1(VALU_DEP_2)
	v_dual_sub_f32 v14, v14, v16 :: v_dual_fma_f32 v15, v12, v15, -v17
	v_cmp_class_f32_e64 vcc_lo, v17, 0x204
	v_fmac_f32_e32 v15, v12, v14
	s_delay_alu instid0(VALU_DEP_1) | instskip(NEXT) | instid1(VALU_DEP_1)
	v_add_f32_e32 v14, v17, v15
	v_cndmask_b32_e32 v16, v14, v17, vcc_lo
	s_delay_alu instid0(VALU_DEP_1) | instskip(SKIP_3) | instid1(VALU_DEP_2)
	v_cmp_eq_f32_e32 vcc_lo, 0x42b17218, v16
	v_cmp_neq_f32_e64 s1, 0x7f800000, |v16|
	v_cndmask_b32_e64 v18, 0, 0x37000000, vcc_lo
	v_cmp_gt_f32_e32 vcc_lo, 0, v12
	v_dual_sub_f32 v19, v16, v18 :: v_dual_sub_f32 v14, v14, v17
	v_cndmask_b32_e64 v16, 0x7f800000, 0, s11
	s_delay_alu instid0(VALU_DEP_2) | instskip(NEXT) | instid1(VALU_DEP_3)
	v_mul_f32_e32 v20, 0x3fb8aa3b, v19
	v_sub_f32_e32 v14, v15, v14
	v_cmp_nlt_f32_e64 s2, 0x42b17218, v19
	s_delay_alu instid0(VALU_DEP_3) | instskip(SKIP_1) | instid1(VALU_DEP_4)
	v_fma_f32 v21, 0x3fb8aa3b, v19, -v20
	v_rndne_f32_e32 v22, v20
	v_cndmask_b32_e64 v14, 0, v14, s1
	v_cmp_ngt_f32_e64 s1, 0xc2ce8ed0, v19
	s_delay_alu instid0(VALU_DEP_3) | instskip(SKIP_1) | instid1(VALU_DEP_2)
	v_dual_fmac_f32 v21, 0x32a5705f, v19 :: v_dual_sub_f32 v20, v20, v22
	v_cvt_i32_f32_e32 v17, v22
	v_add_f32_e32 v20, v20, v21
	v_trunc_f32_e32 v21, v12
	s_delay_alu instid0(VALU_DEP_2) | instskip(NEXT) | instid1(VALU_DEP_1)
	v_exp_f32_e32 v20, v20
	v_cmp_eq_f32_e64 s0, v21, v12
	s_delay_alu instid0(TRANS32_DEP_1) | instskip(SKIP_1) | instid1(VALU_DEP_2)
	v_ldexp_f32 v15, v20, v17
	v_trunc_f32_e32 v17, v23
	v_cndmask_b32_e64 v15, 0, v15, s1
	v_cmp_eq_f32_e64 s1, 0, v13
	s_delay_alu instid0(VALU_DEP_2) | instskip(NEXT) | instid1(VALU_DEP_4)
	v_cndmask_b32_e64 v15, 0x7f800000, v15, s2
	v_cmp_neq_f32_e64 s2, v17, v23
	s_xor_b32 s11, vcc_lo, s1
	s_delay_alu instid0(SALU_CYCLE_1) | instskip(SKIP_3) | instid1(VALU_DEP_2)
	v_cndmask_b32_e64 v17, 0x7f800000, 0, s11
	s_and_b32 vcc_lo, s0, s2
	v_add_f32_e32 v14, v18, v14
	v_cmp_class_f32_e64 s0, v15, 0x204
	v_dual_cndmask_b32 v18, 1.0, v13, vcc_lo :: v_dual_fma_f32 v14, v15, v14, v15
	s_delay_alu instid0(VALU_DEP_1) | instskip(SKIP_1) | instid1(VALU_DEP_2)
	v_cndmask_b32_e64 v14, v14, v15, s0
	v_cmp_neq_f32_e64 s0, |v13|, 1.0
	v_bfi_b32 v14, 0x7fffffff, v14, v18
	s_delay_alu instid0(VALU_DEP_2) | instskip(SKIP_2) | instid1(VALU_DEP_3)
	v_dual_cndmask_b32 v15, 1.0, v16, s0 :: v_dual_cndmask_b32 v16, 0, v13, vcc_lo
	v_cmp_class_f32_e64 vcc_lo, v12, 0x204
	v_cmp_class_f32_e64 s0, v13, 0x204
	v_bfi_b32 v16, 0x7fffffff, v17, v16
	s_delay_alu instid0(VALU_DEP_4) | instskip(SKIP_2) | instid1(VALU_DEP_1)
	v_cndmask_b32_e32 v14, v14, v15, vcc_lo
	s_or_b32 vcc_lo, s1, s0
	s_cmp_lg_u32 s10, 0x400
	v_cndmask_b32_e32 v14, v14, v16, vcc_lo
	s_delay_alu instid0(VALU_DEP_1) | instskip(SKIP_1) | instid1(VALU_DEP_2)
	v_div_scale_f32 v15, null, v14, v14, 1.0
	v_div_scale_f32 v18, vcc_lo, 1.0, v14, 1.0
	v_rcp_f32_e32 v16, v15
	v_nop
	s_delay_alu instid0(TRANS32_DEP_1) | instskip(NEXT) | instid1(VALU_DEP_1)
	v_fma_f32 v17, -v15, v16, 1.0
	v_fmac_f32_e32 v16, v17, v16
	s_delay_alu instid0(VALU_DEP_1) | instskip(NEXT) | instid1(VALU_DEP_1)
	v_mul_f32_e32 v17, v18, v16
	v_fma_f32 v19, -v15, v17, v18
	s_delay_alu instid0(VALU_DEP_1) | instskip(NEXT) | instid1(VALU_DEP_1)
	v_fmac_f32_e32 v17, v19, v16
	v_fma_f32 v15, -v15, v17, v18
	s_delay_alu instid0(VALU_DEP_1) | instskip(SKIP_1) | instid1(VALU_DEP_2)
	v_div_fmas_f32 v15, v15, v16, v17
	v_cmp_o_f32_e32 vcc_lo, v13, v12
	v_div_fixup_f32 v14, v15, v14, 1.0
	s_delay_alu instid0(VALU_DEP_1) | instskip(SKIP_1) | instid1(VALU_DEP_1)
	v_cndmask_b32_e32 v13, 0x7fc00000, v14, vcc_lo
	s_wait_dscnt 0x0
	v_mul_f32_e32 v12, v11, v13
	s_delay_alu instid0(VALU_DEP_1)
	v_pk_add_f32 v[6:7], v[6:7], v[12:13]
	s_cbranch_scc1 .LBB1_12
; %bb.13:                               ;   in Loop: Header=BB1_9 Depth=1
	s_add_co_i32 s0, s9, 1
	s_cmp_lg_u32 s9, s3
	s_barrier_signal -1
	s_barrier_wait -1
	s_cbranch_scc0 .LBB1_15
; %bb.14:                               ;   in Loop: Header=BB1_9 Depth=1
	s_mov_b32 s9, s0
	s_branch .LBB1_9
.LBB1_15:
	v_div_scale_f32 v0, null, v7, v7, v6
	s_delay_alu instid0(VALU_DEP_1) | instskip(SKIP_1) | instid1(TRANS32_DEP_1)
	v_rcp_f32_e32 v1, v0
	v_nop
	v_fma_f32 v4, -v0, v1, 1.0
	s_delay_alu instid0(VALU_DEP_1) | instskip(SKIP_1) | instid1(VALU_DEP_1)
	v_fmac_f32_e32 v1, v4, v1
	v_div_scale_f32 v4, vcc_lo, v6, v7, v6
	v_mul_f32_e32 v5, v4, v1
	s_delay_alu instid0(VALU_DEP_1) | instskip(NEXT) | instid1(VALU_DEP_1)
	v_fma_f32 v8, -v0, v5, v4
	v_fmac_f32_e32 v5, v8, v1
	s_delay_alu instid0(VALU_DEP_1) | instskip(NEXT) | instid1(VALU_DEP_1)
	v_fma_f32 v0, -v0, v5, v4
	v_div_fmas_f32 v0, v0, v1, v5
	s_delay_alu instid0(VALU_DEP_1)
	v_div_fixup_f32 v4, v0, v7, v6
.LBB1_16:
	s_wait_kmcnt 0x0
	v_lshl_add_u64 v[0:1], v[2:3], 2, s[16:17]
	global_store_b32 v[0:1], v4, off
.LBB1_17:
	s_endpgm
	.section	.rodata,"a",@progbits
	.p2align	6, 0x0
	.amdhsa_kernel _Z17AIDW_Kernel_TiledPKfS0_S0_iS0_S0_PfifS0_
		.amdhsa_group_segment_fixed_size 3072
		.amdhsa_private_segment_fixed_size 0
		.amdhsa_kernarg_size 328
		.amdhsa_user_sgpr_count 2
		.amdhsa_user_sgpr_dispatch_ptr 0
		.amdhsa_user_sgpr_queue_ptr 0
		.amdhsa_user_sgpr_kernarg_segment_ptr 1
		.amdhsa_user_sgpr_dispatch_id 0
		.amdhsa_user_sgpr_kernarg_preload_length 0
		.amdhsa_user_sgpr_kernarg_preload_offset 0
		.amdhsa_user_sgpr_private_segment_size 0
		.amdhsa_wavefront_size32 1
		.amdhsa_uses_dynamic_stack 0
		.amdhsa_enable_private_segment 0
		.amdhsa_system_sgpr_workgroup_id_x 1
		.amdhsa_system_sgpr_workgroup_id_y 0
		.amdhsa_system_sgpr_workgroup_id_z 0
		.amdhsa_system_sgpr_workgroup_info 0
		.amdhsa_system_vgpr_workitem_id 0
		.amdhsa_next_free_vgpr 30
		.amdhsa_next_free_sgpr 18
		.amdhsa_named_barrier_count 0
		.amdhsa_reserve_vcc 1
		.amdhsa_float_round_mode_32 0
		.amdhsa_float_round_mode_16_64 0
		.amdhsa_float_denorm_mode_32 3
		.amdhsa_float_denorm_mode_16_64 3
		.amdhsa_fp16_overflow 0
		.amdhsa_memory_ordered 1
		.amdhsa_forward_progress 1
		.amdhsa_inst_pref_size 31
		.amdhsa_round_robin_scheduling 0
		.amdhsa_exception_fp_ieee_invalid_op 0
		.amdhsa_exception_fp_denorm_src 0
		.amdhsa_exception_fp_ieee_div_zero 0
		.amdhsa_exception_fp_ieee_overflow 0
		.amdhsa_exception_fp_ieee_underflow 0
		.amdhsa_exception_fp_ieee_inexact 0
		.amdhsa_exception_int_div_zero 0
	.end_amdhsa_kernel
	.text
.Lfunc_end1:
	.size	_Z17AIDW_Kernel_TiledPKfS0_S0_iS0_S0_PfifS0_, .Lfunc_end1-_Z17AIDW_Kernel_TiledPKfS0_S0_iS0_S0_PfifS0_
                                        ; -- End function
	.set _Z17AIDW_Kernel_TiledPKfS0_S0_iS0_S0_PfifS0_.num_vgpr, 30
	.set _Z17AIDW_Kernel_TiledPKfS0_S0_iS0_S0_PfifS0_.num_agpr, 0
	.set _Z17AIDW_Kernel_TiledPKfS0_S0_iS0_S0_PfifS0_.numbered_sgpr, 18
	.set _Z17AIDW_Kernel_TiledPKfS0_S0_iS0_S0_PfifS0_.num_named_barrier, 0
	.set _Z17AIDW_Kernel_TiledPKfS0_S0_iS0_S0_PfifS0_.private_seg_size, 0
	.set _Z17AIDW_Kernel_TiledPKfS0_S0_iS0_S0_PfifS0_.uses_vcc, 1
	.set _Z17AIDW_Kernel_TiledPKfS0_S0_iS0_S0_PfifS0_.uses_flat_scratch, 0
	.set _Z17AIDW_Kernel_TiledPKfS0_S0_iS0_S0_PfifS0_.has_dyn_sized_stack, 0
	.set _Z17AIDW_Kernel_TiledPKfS0_S0_iS0_S0_PfifS0_.has_recursion, 0
	.set _Z17AIDW_Kernel_TiledPKfS0_S0_iS0_S0_PfifS0_.has_indirect_call, 0
	.section	.AMDGPU.csdata,"",@progbits
; Kernel info:
; codeLenInByte = 3884
; TotalNumSgprs: 20
; NumVgprs: 30
; ScratchSize: 0
; MemoryBound: 0
; FloatMode: 240
; IeeeMode: 1
; LDSByteSize: 3072 bytes/workgroup (compile time only)
; SGPRBlocks: 0
; VGPRBlocks: 1
; NumSGPRsForWavesPerEU: 20
; NumVGPRsForWavesPerEU: 30
; NamedBarCnt: 0
; Occupancy: 16
; WaveLimiterHint : 0
; COMPUTE_PGM_RSRC2:SCRATCH_EN: 0
; COMPUTE_PGM_RSRC2:USER_SGPR: 2
; COMPUTE_PGM_RSRC2:TRAP_HANDLER: 0
; COMPUTE_PGM_RSRC2:TGID_X_EN: 1
; COMPUTE_PGM_RSRC2:TGID_Y_EN: 0
; COMPUTE_PGM_RSRC2:TGID_Z_EN: 0
; COMPUTE_PGM_RSRC2:TIDIG_COMP_CNT: 0
	.text
	.p2alignl 7, 3214868480
	.fill 96, 4, 3214868480
	.section	.AMDGPU.gpr_maximums,"",@progbits
	.set amdgpu.max_num_vgpr, 0
	.set amdgpu.max_num_agpr, 0
	.set amdgpu.max_num_sgpr, 0
	.text
	.type	__hip_cuid_cf910226fd475290,@object ; @__hip_cuid_cf910226fd475290
	.section	.bss,"aw",@nobits
	.globl	__hip_cuid_cf910226fd475290
__hip_cuid_cf910226fd475290:
	.byte	0                               ; 0x0
	.size	__hip_cuid_cf910226fd475290, 1

	.ident	"AMD clang version 22.0.0git (https://github.com/RadeonOpenCompute/llvm-project roc-7.2.4 26084 f58b06dce1f9c15707c5f808fd002e18c2accf7e)"
	.section	".note.GNU-stack","",@progbits
	.addrsig
	.addrsig_sym __hip_cuid_cf910226fd475290
	.amdgpu_metadata
---
amdhsa.kernels:
  - .args:
      - .actual_access:  read_only
        .address_space:  global
        .offset:         0
        .size:           8
        .value_kind:     global_buffer
      - .actual_access:  read_only
        .address_space:  global
        .offset:         8
        .size:           8
        .value_kind:     global_buffer
      - .actual_access:  read_only
        .address_space:  global
        .offset:         16
        .size:           8
        .value_kind:     global_buffer
      - .offset:         24
        .size:           4
        .value_kind:     by_value
      - .actual_access:  read_only
        .address_space:  global
        .offset:         32
        .size:           8
        .value_kind:     global_buffer
      - .actual_access:  read_only
        .address_space:  global
        .offset:         40
        .size:           8
        .value_kind:     global_buffer
      - .actual_access:  write_only
        .address_space:  global
        .offset:         48
        .size:           8
        .value_kind:     global_buffer
      - .offset:         56
        .size:           4
        .value_kind:     by_value
      - .offset:         60
        .size:           4
        .value_kind:     by_value
      - .actual_access:  read_only
        .address_space:  global
        .offset:         64
        .size:           8
        .value_kind:     global_buffer
      - .offset:         72
        .size:           4
        .value_kind:     hidden_block_count_x
      - .offset:         76
        .size:           4
        .value_kind:     hidden_block_count_y
      - .offset:         80
        .size:           4
        .value_kind:     hidden_block_count_z
      - .offset:         84
        .size:           2
        .value_kind:     hidden_group_size_x
      - .offset:         86
        .size:           2
        .value_kind:     hidden_group_size_y
      - .offset:         88
        .size:           2
        .value_kind:     hidden_group_size_z
      - .offset:         90
        .size:           2
        .value_kind:     hidden_remainder_x
      - .offset:         92
        .size:           2
        .value_kind:     hidden_remainder_y
      - .offset:         94
        .size:           2
        .value_kind:     hidden_remainder_z
      - .offset:         112
        .size:           8
        .value_kind:     hidden_global_offset_x
      - .offset:         120
        .size:           8
        .value_kind:     hidden_global_offset_y
      - .offset:         128
        .size:           8
        .value_kind:     hidden_global_offset_z
      - .offset:         136
        .size:           2
        .value_kind:     hidden_grid_dims
    .group_segment_fixed_size: 0
    .kernarg_segment_align: 8
    .kernarg_segment_size: 328
    .language:       OpenCL C
    .language_version:
      - 2
      - 0
    .max_flat_workgroup_size: 1024
    .name:           _Z11AIDW_KernelPKfS0_S0_iS0_S0_PfifS0_
    .private_segment_fixed_size: 0
    .sgpr_count:     20
    .sgpr_spill_count: 0
    .symbol:         _Z11AIDW_KernelPKfS0_S0_iS0_S0_PfifS0_.kd
    .uniform_work_group_size: 1
    .uses_dynamic_stack: false
    .vgpr_count:     26
    .vgpr_spill_count: 0
    .wavefront_size: 32
  - .args:
      - .actual_access:  read_only
        .address_space:  global
        .offset:         0
        .size:           8
        .value_kind:     global_buffer
      - .actual_access:  read_only
        .address_space:  global
        .offset:         8
        .size:           8
        .value_kind:     global_buffer
      - .actual_access:  read_only
        .address_space:  global
        .offset:         16
        .size:           8
        .value_kind:     global_buffer
      - .offset:         24
        .size:           4
        .value_kind:     by_value
      - .actual_access:  read_only
        .address_space:  global
        .offset:         32
        .size:           8
        .value_kind:     global_buffer
      - .actual_access:  read_only
        .address_space:  global
        .offset:         40
        .size:           8
        .value_kind:     global_buffer
      - .actual_access:  write_only
        .address_space:  global
        .offset:         48
        .size:           8
        .value_kind:     global_buffer
      - .offset:         56
        .size:           4
        .value_kind:     by_value
      - .offset:         60
        .size:           4
        .value_kind:     by_value
      - .actual_access:  read_only
        .address_space:  global
        .offset:         64
        .size:           8
        .value_kind:     global_buffer
      - .offset:         72
        .size:           4
        .value_kind:     hidden_block_count_x
      - .offset:         76
        .size:           4
        .value_kind:     hidden_block_count_y
      - .offset:         80
        .size:           4
        .value_kind:     hidden_block_count_z
      - .offset:         84
        .size:           2
        .value_kind:     hidden_group_size_x
      - .offset:         86
        .size:           2
        .value_kind:     hidden_group_size_y
      - .offset:         88
        .size:           2
        .value_kind:     hidden_group_size_z
      - .offset:         90
        .size:           2
        .value_kind:     hidden_remainder_x
      - .offset:         92
        .size:           2
        .value_kind:     hidden_remainder_y
      - .offset:         94
        .size:           2
        .value_kind:     hidden_remainder_z
      - .offset:         112
        .size:           8
        .value_kind:     hidden_global_offset_x
      - .offset:         120
        .size:           8
        .value_kind:     hidden_global_offset_y
      - .offset:         128
        .size:           8
        .value_kind:     hidden_global_offset_z
      - .offset:         136
        .size:           2
        .value_kind:     hidden_grid_dims
    .group_segment_fixed_size: 3072
    .kernarg_segment_align: 8
    .kernarg_segment_size: 328
    .language:       OpenCL C
    .language_version:
      - 2
      - 0
    .max_flat_workgroup_size: 1024
    .name:           _Z17AIDW_Kernel_TiledPKfS0_S0_iS0_S0_PfifS0_
    .private_segment_fixed_size: 0
    .sgpr_count:     20
    .sgpr_spill_count: 0
    .symbol:         _Z17AIDW_Kernel_TiledPKfS0_S0_iS0_S0_PfifS0_.kd
    .uniform_work_group_size: 1
    .uses_dynamic_stack: false
    .vgpr_count:     30
    .vgpr_spill_count: 0
    .wavefront_size: 32
amdhsa.target:   amdgcn-amd-amdhsa--gfx1250
amdhsa.version:
  - 1
  - 2
...

	.end_amdgpu_metadata
